;; amdgpu-corpus repo=ROCm/rocSOLVER kind=compiled arch=gfx906 opt=O3
	.amdgcn_target "amdgcn-amd-amdhsa--gfx906"
	.amdhsa_code_object_version 6
	.text
	.p2align	2                               ; -- Begin function __ockl_fprintf_append_string_n
	.type	__ockl_fprintf_append_string_n,@function
__ockl_fprintf_append_string_n:         ; @__ockl_fprintf_append_string_n
; %bb.0:
	s_waitcnt vmcnt(0) expcnt(0) lgkmcnt(0)
	v_mov_b32_e32 v8, v3
	v_mov_b32_e32 v7, v2
	v_or_b32_e32 v2, 2, v0
	v_cmp_eq_u32_e32 vcc, 0, v6
	v_cndmask_b32_e32 v0, v2, v0, vcc
	v_cmp_ne_u64_e32 vcc, 0, v[7:8]
	s_mov_b32 s22, 0
	s_mov_b64 s[6:7], 0
	v_mbcnt_lo_u32_b32 v2, -1, 0
	s_and_saveexec_b64 s[4:5], vcc
	s_xor_b64 s[10:11], exec, s[4:5]
	s_cbranch_execz .LBB0_86
; %bb.1:
	s_load_dwordx2 s[12:13], s[8:9], 0x50
	v_and_b32_e32 v6, 2, v0
	v_mov_b32_e32 v29, 0
	v_and_b32_e32 v0, -3, v0
	v_mbcnt_hi_u32_b32 v34, -1, v2
	s_movk_i32 s23, 0x1e0
	v_mov_b32_e32 v11, 2
	v_mov_b32_e32 v12, 1
	s_branch .LBB0_3
.LBB0_2:                                ;   in Loop: Header=BB0_3 Depth=1
	s_or_b64 exec, exec, s[16:17]
	v_sub_co_u32_e32 v4, vcc, v4, v30
	v_subb_co_u32_e32 v5, vcc, v5, v31, vcc
	v_cmp_eq_u64_e32 vcc, 0, v[4:5]
	s_or_b64 s[6:7], vcc, s[6:7]
	v_add_co_u32_e32 v7, vcc, v7, v30
	v_addc_co_u32_e32 v8, vcc, v8, v31, vcc
	s_andn2_b64 exec, exec, s[6:7]
	s_cbranch_execz .LBB0_85
.LBB0_3:                                ; =>This Loop Header: Depth=1
                                        ;     Child Loop BB0_6 Depth 2
                                        ;     Child Loop BB0_14 Depth 2
	;; [unrolled: 1-line block ×11, first 2 shown]
	v_cmp_gt_u64_e32 vcc, 56, v[4:5]
	v_add_co_u32_e64 v15, s[4:5], 8, v7
	v_cndmask_b32_e32 v31, 0, v5, vcc
	v_cndmask_b32_e32 v30, 56, v4, vcc
	v_cmp_gt_u64_e32 vcc, 8, v[4:5]
	v_addc_co_u32_e64 v16, s[4:5], 0, v8, s[4:5]
	s_and_saveexec_b64 s[4:5], vcc
	s_xor_b64 s[4:5], exec, s[4:5]
	s_cbranch_execz .LBB0_9
; %bb.4:                                ;   in Loop: Header=BB0_3 Depth=1
	s_waitcnt vmcnt(0)
	v_mov_b32_e32 v2, 0
	v_cmp_ne_u64_e32 vcc, 0, v[4:5]
	v_mov_b32_e32 v3, 0
	s_and_saveexec_b64 s[14:15], vcc
	s_cbranch_execz .LBB0_8
; %bb.5:                                ;   in Loop: Header=BB0_3 Depth=1
	v_lshlrev_b64 v[9:10], 3, v[30:31]
	v_mov_b32_e32 v2, 0
	v_mov_b32_e32 v14, v8
	s_mov_b64 s[16:17], 0
	v_mov_b32_e32 v3, 0
	v_mov_b32_e32 v13, v7
	s_mov_b64 s[18:19], 0
.LBB0_6:                                ;   Parent Loop BB0_3 Depth=1
                                        ; =>  This Inner Loop Header: Depth=2
	global_load_ubyte v10, v[13:14], off
	v_mov_b32_e32 v16, s22
	v_add_co_u32_e32 v13, vcc, 1, v13
	v_addc_co_u32_e32 v14, vcc, 0, v14, vcc
	s_waitcnt vmcnt(0)
	v_and_b32_e32 v15, 0xffff, v10
	v_lshlrev_b64 v[15:16], s18, v[15:16]
	s_add_u32 s18, s18, 8
	s_addc_u32 s19, s19, 0
	v_cmp_eq_u32_e32 vcc, s18, v9
	v_or_b32_e32 v3, v16, v3
	s_or_b64 s[16:17], vcc, s[16:17]
	v_or_b32_e32 v2, v15, v2
	s_andn2_b64 exec, exec, s[16:17]
	s_cbranch_execnz .LBB0_6
; %bb.7:                                ;   in Loop: Header=BB0_3 Depth=1
	s_or_b64 exec, exec, s[16:17]
.LBB0_8:                                ;   in Loop: Header=BB0_3 Depth=1
	s_or_b64 exec, exec, s[14:15]
	v_mov_b32_e32 v16, v8
	v_mov_b32_e32 v15, v7
.LBB0_9:                                ;   in Loop: Header=BB0_3 Depth=1
	s_or_saveexec_b64 s[4:5], s[4:5]
	v_mov_b32_e32 v17, 0
	s_xor_b64 exec, exec, s[4:5]
	s_cbranch_execz .LBB0_11
; %bb.10:                               ;   in Loop: Header=BB0_3 Depth=1
	global_load_dwordx2 v[2:3], v[7:8], off
	v_add_u32_e32 v17, -8, v30
.LBB0_11:                               ;   in Loop: Header=BB0_3 Depth=1
	s_or_b64 exec, exec, s[4:5]
	v_add_co_u32_e64 v9, s[4:5], 8, v15
	v_cmp_gt_u32_e32 vcc, 8, v17
	v_addc_co_u32_e64 v10, s[4:5], 0, v16, s[4:5]
                                        ; implicit-def: $vgpr13_vgpr14
	s_and_saveexec_b64 s[4:5], vcc
	s_xor_b64 s[4:5], exec, s[4:5]
	s_cbranch_execz .LBB0_17
; %bb.12:                               ;   in Loop: Header=BB0_3 Depth=1
	v_mov_b32_e32 v13, 0
	v_mov_b32_e32 v14, 0
	v_cmp_ne_u32_e32 vcc, 0, v17
	s_and_saveexec_b64 s[14:15], vcc
	s_cbranch_execz .LBB0_16
; %bb.13:                               ;   in Loop: Header=BB0_3 Depth=1
	v_mov_b32_e32 v13, 0
	s_mov_b64 s[16:17], 0
	v_mov_b32_e32 v14, 0
	s_mov_b64 s[18:19], 0
	s_mov_b64 s[20:21], 0
.LBB0_14:                               ;   Parent Loop BB0_3 Depth=1
                                        ; =>  This Inner Loop Header: Depth=2
	v_mov_b32_e32 v10, s21
	v_add_co_u32_e32 v9, vcc, s20, v15
	v_addc_co_u32_e32 v10, vcc, v16, v10, vcc
	global_load_ubyte v9, v[9:10], off
	s_add_u32 s20, s20, 1
	v_mov_b32_e32 v10, s22
	s_addc_u32 s21, s21, 0
	v_cmp_eq_u32_e32 vcc, s20, v17
	s_waitcnt vmcnt(0)
	v_and_b32_e32 v9, 0xffff, v9
	v_lshlrev_b64 v[9:10], s18, v[9:10]
	s_add_u32 s18, s18, 8
	s_addc_u32 s19, s19, 0
	v_or_b32_e32 v14, v10, v14
	s_or_b64 s[16:17], vcc, s[16:17]
	v_or_b32_e32 v13, v9, v13
	s_andn2_b64 exec, exec, s[16:17]
	s_cbranch_execnz .LBB0_14
; %bb.15:                               ;   in Loop: Header=BB0_3 Depth=1
	s_or_b64 exec, exec, s[16:17]
.LBB0_16:                               ;   in Loop: Header=BB0_3 Depth=1
	s_or_b64 exec, exec, s[14:15]
	v_mov_b32_e32 v9, v15
	v_mov_b32_e32 v10, v16
                                        ; implicit-def: $vgpr17
.LBB0_17:                               ;   in Loop: Header=BB0_3 Depth=1
	s_or_saveexec_b64 s[4:5], s[4:5]
	v_mov_b32_e32 v18, 0
	s_xor_b64 exec, exec, s[4:5]
	s_cbranch_execz .LBB0_19
; %bb.18:                               ;   in Loop: Header=BB0_3 Depth=1
	global_load_dwordx2 v[13:14], v[15:16], off
	v_add_u32_e32 v18, -8, v17
.LBB0_19:                               ;   in Loop: Header=BB0_3 Depth=1
	s_or_b64 exec, exec, s[4:5]
	v_add_co_u32_e64 v19, s[4:5], 8, v9
	v_cmp_gt_u32_e32 vcc, 8, v18
	v_addc_co_u32_e64 v20, s[4:5], 0, v10, s[4:5]
	s_and_saveexec_b64 s[4:5], vcc
	s_xor_b64 s[4:5], exec, s[4:5]
	s_cbranch_execz .LBB0_25
; %bb.20:                               ;   in Loop: Header=BB0_3 Depth=1
	v_mov_b32_e32 v15, 0
	v_mov_b32_e32 v16, 0
	v_cmp_ne_u32_e32 vcc, 0, v18
	s_and_saveexec_b64 s[14:15], vcc
	s_cbranch_execz .LBB0_24
; %bb.21:                               ;   in Loop: Header=BB0_3 Depth=1
	v_mov_b32_e32 v15, 0
	s_mov_b64 s[16:17], 0
	v_mov_b32_e32 v16, 0
	s_mov_b64 s[18:19], 0
	s_mov_b64 s[20:21], 0
.LBB0_22:                               ;   Parent Loop BB0_3 Depth=1
                                        ; =>  This Inner Loop Header: Depth=2
	v_mov_b32_e32 v17, s21
	v_add_co_u32_e32 v19, vcc, s20, v9
	v_addc_co_u32_e32 v20, vcc, v10, v17, vcc
	global_load_ubyte v17, v[19:20], off
	s_add_u32 s20, s20, 1
	v_mov_b32_e32 v20, s22
	s_addc_u32 s21, s21, 0
	v_cmp_eq_u32_e32 vcc, s20, v18
	s_waitcnt vmcnt(0)
	v_and_b32_e32 v19, 0xffff, v17
	v_lshlrev_b64 v[19:20], s18, v[19:20]
	s_add_u32 s18, s18, 8
	s_addc_u32 s19, s19, 0
	v_or_b32_e32 v16, v20, v16
	s_or_b64 s[16:17], vcc, s[16:17]
	v_or_b32_e32 v15, v19, v15
	s_andn2_b64 exec, exec, s[16:17]
	s_cbranch_execnz .LBB0_22
; %bb.23:                               ;   in Loop: Header=BB0_3 Depth=1
	s_or_b64 exec, exec, s[16:17]
.LBB0_24:                               ;   in Loop: Header=BB0_3 Depth=1
	s_or_b64 exec, exec, s[14:15]
	v_mov_b32_e32 v20, v10
	v_mov_b32_e32 v19, v9
                                        ; implicit-def: $vgpr18
.LBB0_25:                               ;   in Loop: Header=BB0_3 Depth=1
	s_or_saveexec_b64 s[4:5], s[4:5]
	v_mov_b32_e32 v21, 0
	s_xor_b64 exec, exec, s[4:5]
	s_cbranch_execz .LBB0_27
; %bb.26:                               ;   in Loop: Header=BB0_3 Depth=1
	global_load_dwordx2 v[15:16], v[9:10], off
	v_add_u32_e32 v21, -8, v18
.LBB0_27:                               ;   in Loop: Header=BB0_3 Depth=1
	s_or_b64 exec, exec, s[4:5]
	v_add_co_u32_e64 v9, s[4:5], 8, v19
	v_cmp_gt_u32_e32 vcc, 8, v21
	v_addc_co_u32_e64 v10, s[4:5], 0, v20, s[4:5]
                                        ; implicit-def: $vgpr17_vgpr18
	s_and_saveexec_b64 s[4:5], vcc
	s_xor_b64 s[4:5], exec, s[4:5]
	s_cbranch_execz .LBB0_33
; %bb.28:                               ;   in Loop: Header=BB0_3 Depth=1
	v_mov_b32_e32 v17, 0
	v_mov_b32_e32 v18, 0
	v_cmp_ne_u32_e32 vcc, 0, v21
	s_and_saveexec_b64 s[14:15], vcc
	s_cbranch_execz .LBB0_32
; %bb.29:                               ;   in Loop: Header=BB0_3 Depth=1
	v_mov_b32_e32 v17, 0
	s_mov_b64 s[16:17], 0
	v_mov_b32_e32 v18, 0
	s_mov_b64 s[18:19], 0
	s_mov_b64 s[20:21], 0
.LBB0_30:                               ;   Parent Loop BB0_3 Depth=1
                                        ; =>  This Inner Loop Header: Depth=2
	v_mov_b32_e32 v10, s21
	v_add_co_u32_e32 v9, vcc, s20, v19
	v_addc_co_u32_e32 v10, vcc, v20, v10, vcc
	global_load_ubyte v9, v[9:10], off
	s_add_u32 s20, s20, 1
	v_mov_b32_e32 v10, s22
	s_addc_u32 s21, s21, 0
	v_cmp_eq_u32_e32 vcc, s20, v21
	s_waitcnt vmcnt(0)
	v_and_b32_e32 v9, 0xffff, v9
	v_lshlrev_b64 v[9:10], s18, v[9:10]
	s_add_u32 s18, s18, 8
	s_addc_u32 s19, s19, 0
	v_or_b32_e32 v18, v10, v18
	s_or_b64 s[16:17], vcc, s[16:17]
	v_or_b32_e32 v17, v9, v17
	s_andn2_b64 exec, exec, s[16:17]
	s_cbranch_execnz .LBB0_30
; %bb.31:                               ;   in Loop: Header=BB0_3 Depth=1
	s_or_b64 exec, exec, s[16:17]
.LBB0_32:                               ;   in Loop: Header=BB0_3 Depth=1
	s_or_b64 exec, exec, s[14:15]
	v_mov_b32_e32 v9, v19
	v_mov_b32_e32 v10, v20
                                        ; implicit-def: $vgpr21
.LBB0_33:                               ;   in Loop: Header=BB0_3 Depth=1
	s_or_saveexec_b64 s[4:5], s[4:5]
	v_mov_b32_e32 v22, 0
	s_xor_b64 exec, exec, s[4:5]
	s_cbranch_execz .LBB0_35
; %bb.34:                               ;   in Loop: Header=BB0_3 Depth=1
	global_load_dwordx2 v[17:18], v[19:20], off
	v_add_u32_e32 v22, -8, v21
.LBB0_35:                               ;   in Loop: Header=BB0_3 Depth=1
	s_or_b64 exec, exec, s[4:5]
	v_add_co_u32_e64 v23, s[4:5], 8, v9
	v_cmp_gt_u32_e32 vcc, 8, v22
	v_addc_co_u32_e64 v24, s[4:5], 0, v10, s[4:5]
	s_and_saveexec_b64 s[4:5], vcc
	s_xor_b64 s[4:5], exec, s[4:5]
	s_cbranch_execz .LBB0_41
; %bb.36:                               ;   in Loop: Header=BB0_3 Depth=1
	v_mov_b32_e32 v19, 0
	v_mov_b32_e32 v20, 0
	v_cmp_ne_u32_e32 vcc, 0, v22
	s_and_saveexec_b64 s[14:15], vcc
	s_cbranch_execz .LBB0_40
; %bb.37:                               ;   in Loop: Header=BB0_3 Depth=1
	v_mov_b32_e32 v19, 0
	s_mov_b64 s[16:17], 0
	v_mov_b32_e32 v20, 0
	s_mov_b64 s[18:19], 0
	s_mov_b64 s[20:21], 0
.LBB0_38:                               ;   Parent Loop BB0_3 Depth=1
                                        ; =>  This Inner Loop Header: Depth=2
	v_mov_b32_e32 v21, s21
	v_add_co_u32_e32 v23, vcc, s20, v9
	v_addc_co_u32_e32 v24, vcc, v10, v21, vcc
	global_load_ubyte v21, v[23:24], off
	s_add_u32 s20, s20, 1
	v_mov_b32_e32 v24, s22
	s_addc_u32 s21, s21, 0
	v_cmp_eq_u32_e32 vcc, s20, v22
	s_waitcnt vmcnt(0)
	v_and_b32_e32 v23, 0xffff, v21
	v_lshlrev_b64 v[23:24], s18, v[23:24]
	s_add_u32 s18, s18, 8
	s_addc_u32 s19, s19, 0
	v_or_b32_e32 v20, v24, v20
	s_or_b64 s[16:17], vcc, s[16:17]
	v_or_b32_e32 v19, v23, v19
	s_andn2_b64 exec, exec, s[16:17]
	s_cbranch_execnz .LBB0_38
; %bb.39:                               ;   in Loop: Header=BB0_3 Depth=1
	s_or_b64 exec, exec, s[16:17]
.LBB0_40:                               ;   in Loop: Header=BB0_3 Depth=1
	s_or_b64 exec, exec, s[14:15]
	v_mov_b32_e32 v24, v10
	v_mov_b32_e32 v23, v9
                                        ; implicit-def: $vgpr22
.LBB0_41:                               ;   in Loop: Header=BB0_3 Depth=1
	s_or_saveexec_b64 s[4:5], s[4:5]
	v_mov_b32_e32 v25, 0
	s_xor_b64 exec, exec, s[4:5]
	s_cbranch_execz .LBB0_43
; %bb.42:                               ;   in Loop: Header=BB0_3 Depth=1
	global_load_dwordx2 v[19:20], v[9:10], off
	v_add_u32_e32 v25, -8, v22
.LBB0_43:                               ;   in Loop: Header=BB0_3 Depth=1
	s_or_b64 exec, exec, s[4:5]
	v_add_co_u32_e64 v9, s[4:5], 8, v23
	v_cmp_gt_u32_e32 vcc, 8, v25
	v_addc_co_u32_e64 v10, s[4:5], 0, v24, s[4:5]
                                        ; implicit-def: $vgpr21_vgpr22
	s_and_saveexec_b64 s[4:5], vcc
	s_xor_b64 s[4:5], exec, s[4:5]
	s_cbranch_execz .LBB0_49
; %bb.44:                               ;   in Loop: Header=BB0_3 Depth=1
	v_mov_b32_e32 v21, 0
	v_mov_b32_e32 v22, 0
	v_cmp_ne_u32_e32 vcc, 0, v25
	s_and_saveexec_b64 s[14:15], vcc
	s_cbranch_execz .LBB0_48
; %bb.45:                               ;   in Loop: Header=BB0_3 Depth=1
	v_mov_b32_e32 v21, 0
	s_mov_b64 s[16:17], 0
	v_mov_b32_e32 v22, 0
	s_mov_b64 s[18:19], 0
	s_mov_b64 s[20:21], 0
.LBB0_46:                               ;   Parent Loop BB0_3 Depth=1
                                        ; =>  This Inner Loop Header: Depth=2
	v_mov_b32_e32 v10, s21
	v_add_co_u32_e32 v9, vcc, s20, v23
	v_addc_co_u32_e32 v10, vcc, v24, v10, vcc
	global_load_ubyte v9, v[9:10], off
	s_add_u32 s20, s20, 1
	v_mov_b32_e32 v10, s22
	s_addc_u32 s21, s21, 0
	v_cmp_eq_u32_e32 vcc, s20, v25
	s_waitcnt vmcnt(0)
	v_and_b32_e32 v9, 0xffff, v9
	v_lshlrev_b64 v[9:10], s18, v[9:10]
	s_add_u32 s18, s18, 8
	s_addc_u32 s19, s19, 0
	v_or_b32_e32 v22, v10, v22
	s_or_b64 s[16:17], vcc, s[16:17]
	v_or_b32_e32 v21, v9, v21
	s_andn2_b64 exec, exec, s[16:17]
	s_cbranch_execnz .LBB0_46
; %bb.47:                               ;   in Loop: Header=BB0_3 Depth=1
	s_or_b64 exec, exec, s[16:17]
.LBB0_48:                               ;   in Loop: Header=BB0_3 Depth=1
	s_or_b64 exec, exec, s[14:15]
	v_mov_b32_e32 v9, v23
	v_mov_b32_e32 v10, v24
                                        ; implicit-def: $vgpr25
.LBB0_49:                               ;   in Loop: Header=BB0_3 Depth=1
	s_or_saveexec_b64 s[4:5], s[4:5]
	v_mov_b32_e32 v26, 0
	s_xor_b64 exec, exec, s[4:5]
	s_cbranch_execz .LBB0_51
; %bb.50:                               ;   in Loop: Header=BB0_3 Depth=1
	global_load_dwordx2 v[21:22], v[23:24], off
	v_add_u32_e32 v26, -8, v25
.LBB0_51:                               ;   in Loop: Header=BB0_3 Depth=1
	s_or_b64 exec, exec, s[4:5]
	v_cmp_gt_u32_e32 vcc, 8, v26
	s_and_saveexec_b64 s[4:5], vcc
	s_xor_b64 s[4:5], exec, s[4:5]
	s_cbranch_execz .LBB0_57
; %bb.52:                               ;   in Loop: Header=BB0_3 Depth=1
	v_mov_b32_e32 v23, 0
	v_mov_b32_e32 v24, 0
	v_cmp_ne_u32_e32 vcc, 0, v26
	s_and_saveexec_b64 s[14:15], vcc
	s_cbranch_execz .LBB0_56
; %bb.53:                               ;   in Loop: Header=BB0_3 Depth=1
	v_mov_b32_e32 v23, 0
	s_mov_b64 s[16:17], 0
	v_mov_b32_e32 v24, 0
	s_mov_b64 s[18:19], 0
.LBB0_54:                               ;   Parent Loop BB0_3 Depth=1
                                        ; =>  This Inner Loop Header: Depth=2
	global_load_ubyte v25, v[9:10], off
	v_mov_b32_e32 v28, s22
	v_add_co_u32_e32 v9, vcc, 1, v9
	v_add_u32_e32 v26, -1, v26
	v_addc_co_u32_e32 v10, vcc, 0, v10, vcc
	v_cmp_eq_u32_e32 vcc, 0, v26
	s_waitcnt vmcnt(0)
	v_and_b32_e32 v27, 0xffff, v25
	v_lshlrev_b64 v[27:28], s18, v[27:28]
	s_add_u32 s18, s18, 8
	s_addc_u32 s19, s19, 0
	v_or_b32_e32 v24, v28, v24
	s_or_b64 s[16:17], vcc, s[16:17]
	v_or_b32_e32 v23, v27, v23
	s_andn2_b64 exec, exec, s[16:17]
	s_cbranch_execnz .LBB0_54
; %bb.55:                               ;   in Loop: Header=BB0_3 Depth=1
	s_or_b64 exec, exec, s[16:17]
.LBB0_56:                               ;   in Loop: Header=BB0_3 Depth=1
	s_or_b64 exec, exec, s[14:15]
                                        ; implicit-def: $vgpr9_vgpr10
.LBB0_57:                               ;   in Loop: Header=BB0_3 Depth=1
	s_andn2_saveexec_b64 s[4:5], s[4:5]
	s_cbranch_execz .LBB0_59
; %bb.58:                               ;   in Loop: Header=BB0_3 Depth=1
	global_load_dwordx2 v[23:24], v[9:10], off
.LBB0_59:                               ;   in Loop: Header=BB0_3 Depth=1
	s_or_b64 exec, exec, s[4:5]
	v_readfirstlane_b32 s4, v34
	v_mov_b32_e32 v9, 0
	v_mov_b32_e32 v10, 0
	v_cmp_eq_u32_e64 s[4:5], s4, v34
	s_and_saveexec_b64 s[14:15], s[4:5]
	s_cbranch_execz .LBB0_65
; %bb.60:                               ;   in Loop: Header=BB0_3 Depth=1
	s_waitcnt lgkmcnt(0)
	global_load_dwordx2 v[27:28], v29, s[12:13] offset:24 glc
	s_waitcnt vmcnt(0)
	buffer_wbinvl1_vol
	global_load_dwordx2 v[9:10], v29, s[12:13] offset:40
	global_load_dwordx2 v[25:26], v29, s[12:13]
	s_waitcnt vmcnt(1)
	v_and_b32_e32 v9, v9, v27
	v_and_b32_e32 v10, v10, v28
	v_mul_lo_u32 v10, v10, 24
	v_mul_hi_u32 v32, v9, 24
	v_mul_lo_u32 v9, v9, 24
	v_add_u32_e32 v10, v32, v10
	s_waitcnt vmcnt(0)
	v_add_co_u32_e32 v9, vcc, v25, v9
	v_addc_co_u32_e32 v10, vcc, v26, v10, vcc
	global_load_dwordx2 v[25:26], v[9:10], off glc
	s_waitcnt vmcnt(0)
	global_atomic_cmpswap_x2 v[9:10], v29, v[25:28], s[12:13] offset:24 glc
	s_waitcnt vmcnt(0)
	buffer_wbinvl1_vol
	v_cmp_ne_u64_e32 vcc, v[9:10], v[27:28]
	s_and_saveexec_b64 s[16:17], vcc
	s_cbranch_execz .LBB0_64
; %bb.61:                               ;   in Loop: Header=BB0_3 Depth=1
	s_mov_b64 s[18:19], 0
.LBB0_62:                               ;   Parent Loop BB0_3 Depth=1
                                        ; =>  This Inner Loop Header: Depth=2
	s_sleep 1
	global_load_dwordx2 v[25:26], v29, s[12:13] offset:40
	global_load_dwordx2 v[32:33], v29, s[12:13]
	v_mov_b32_e32 v28, v10
	v_mov_b32_e32 v27, v9
	s_waitcnt vmcnt(1)
	v_and_b32_e32 v9, v25, v27
	s_waitcnt vmcnt(0)
	v_mad_u64_u32 v[9:10], s[20:21], v9, 24, v[32:33]
	v_and_b32_e32 v25, v26, v28
	v_mad_u64_u32 v[25:26], s[20:21], v25, 24, v[10:11]
	v_mov_b32_e32 v10, v25
	global_load_dwordx2 v[25:26], v[9:10], off glc
	s_waitcnt vmcnt(0)
	global_atomic_cmpswap_x2 v[9:10], v29, v[25:28], s[12:13] offset:24 glc
	s_waitcnt vmcnt(0)
	buffer_wbinvl1_vol
	v_cmp_eq_u64_e32 vcc, v[9:10], v[27:28]
	s_or_b64 s[18:19], vcc, s[18:19]
	s_andn2_b64 exec, exec, s[18:19]
	s_cbranch_execnz .LBB0_62
; %bb.63:                               ;   in Loop: Header=BB0_3 Depth=1
	s_or_b64 exec, exec, s[18:19]
.LBB0_64:                               ;   in Loop: Header=BB0_3 Depth=1
	s_or_b64 exec, exec, s[16:17]
.LBB0_65:                               ;   in Loop: Header=BB0_3 Depth=1
	s_or_b64 exec, exec, s[14:15]
	s_waitcnt lgkmcnt(0)
	global_load_dwordx2 v[32:33], v29, s[12:13] offset:40
	global_load_dwordx4 v[25:28], v29, s[12:13]
	v_readfirstlane_b32 s15, v10
	v_readfirstlane_b32 s14, v9
	s_mov_b64 s[16:17], exec
	s_waitcnt vmcnt(1)
	v_readfirstlane_b32 s18, v32
	v_readfirstlane_b32 s19, v33
	s_and_b64 s[18:19], s[18:19], s[14:15]
	s_mul_i32 s20, s19, 24
	s_mul_hi_u32 s21, s18, 24
	s_mul_i32 s24, s18, 24
	s_add_i32 s20, s21, s20
	v_mov_b32_e32 v9, s20
	s_waitcnt vmcnt(0)
	v_add_co_u32_e32 v32, vcc, s24, v25
	v_addc_co_u32_e32 v33, vcc, v26, v9, vcc
	s_and_saveexec_b64 s[20:21], s[4:5]
	s_cbranch_execz .LBB0_67
; %bb.66:                               ;   in Loop: Header=BB0_3 Depth=1
	v_mov_b32_e32 v9, s16
	v_mov_b32_e32 v10, s17
	global_store_dwordx4 v[32:33], v[9:12], off offset:8
.LBB0_67:                               ;   in Loop: Header=BB0_3 Depth=1
	s_or_b64 exec, exec, s[20:21]
	s_lshl_b64 s[16:17], s[18:19], 12
	v_mov_b32_e32 v9, s17
	v_add_co_u32_e32 v27, vcc, s16, v27
	v_addc_co_u32_e32 v35, vcc, v28, v9, vcc
	v_cmp_gt_u64_e32 vcc, 57, v[4:5]
	v_and_b32_e32 v0, 0xffffff1f, v0
	v_cndmask_b32_e32 v9, 0, v6, vcc
	v_lshl_add_u32 v10, v30, 2, 28
	v_or_b32_e32 v0, v0, v9
	v_and_or_b32 v0, v10, s23, v0
	v_lshlrev_b32_e32 v36, 6, v34
	v_readfirstlane_b32 s16, v27
	v_readfirstlane_b32 s17, v35
	s_nop 4
	global_store_dwordx4 v36, v[0:3], s[16:17]
	global_store_dwordx4 v36, v[13:16], s[16:17] offset:16
	global_store_dwordx4 v36, v[17:20], s[16:17] offset:32
	;; [unrolled: 1-line block ×3, first 2 shown]
	s_and_saveexec_b64 s[16:17], s[4:5]
	s_cbranch_execz .LBB0_75
; %bb.68:                               ;   in Loop: Header=BB0_3 Depth=1
	global_load_dwordx2 v[15:16], v29, s[12:13] offset:32 glc
	global_load_dwordx2 v[0:1], v29, s[12:13] offset:40
	v_mov_b32_e32 v13, s14
	v_mov_b32_e32 v14, s15
	s_waitcnt vmcnt(0)
	v_readfirstlane_b32 s18, v0
	v_readfirstlane_b32 s19, v1
	s_and_b64 s[18:19], s[18:19], s[14:15]
	s_mul_i32 s19, s19, 24
	s_mul_hi_u32 s20, s18, 24
	s_mul_i32 s18, s18, 24
	s_add_i32 s19, s20, s19
	v_mov_b32_e32 v0, s19
	v_add_co_u32_e32 v9, vcc, s18, v25
	v_addc_co_u32_e32 v10, vcc, v26, v0, vcc
	global_store_dwordx2 v[9:10], v[15:16], off
	s_waitcnt vmcnt(0)
	global_atomic_cmpswap_x2 v[2:3], v29, v[13:16], s[12:13] offset:32 glc
	s_waitcnt vmcnt(0)
	v_cmp_ne_u64_e32 vcc, v[2:3], v[15:16]
	s_and_saveexec_b64 s[18:19], vcc
	s_cbranch_execz .LBB0_71
; %bb.69:                               ;   in Loop: Header=BB0_3 Depth=1
	s_mov_b64 s[20:21], 0
.LBB0_70:                               ;   Parent Loop BB0_3 Depth=1
                                        ; =>  This Inner Loop Header: Depth=2
	s_sleep 1
	global_store_dwordx2 v[9:10], v[2:3], off
	v_mov_b32_e32 v0, s14
	v_mov_b32_e32 v1, s15
	s_waitcnt vmcnt(0)
	global_atomic_cmpswap_x2 v[0:1], v29, v[0:3], s[12:13] offset:32 glc
	s_waitcnt vmcnt(0)
	v_cmp_eq_u64_e32 vcc, v[0:1], v[2:3]
	v_mov_b32_e32 v3, v1
	s_or_b64 s[20:21], vcc, s[20:21]
	v_mov_b32_e32 v2, v0
	s_andn2_b64 exec, exec, s[20:21]
	s_cbranch_execnz .LBB0_70
.LBB0_71:                               ;   in Loop: Header=BB0_3 Depth=1
	s_or_b64 exec, exec, s[18:19]
	global_load_dwordx2 v[0:1], v29, s[12:13] offset:16
	s_mov_b64 s[20:21], exec
	v_mbcnt_lo_u32_b32 v2, s20, 0
	v_mbcnt_hi_u32_b32 v2, s21, v2
	v_cmp_eq_u32_e32 vcc, 0, v2
	s_and_saveexec_b64 s[18:19], vcc
	s_cbranch_execz .LBB0_73
; %bb.72:                               ;   in Loop: Header=BB0_3 Depth=1
	s_bcnt1_i32_b64 s20, s[20:21]
	v_mov_b32_e32 v28, s20
	s_waitcnt vmcnt(0)
	global_atomic_add_x2 v[0:1], v[28:29], off offset:8
.LBB0_73:                               ;   in Loop: Header=BB0_3 Depth=1
	s_or_b64 exec, exec, s[18:19]
	s_waitcnt vmcnt(0)
	global_load_dwordx2 v[2:3], v[0:1], off offset:16
	s_waitcnt vmcnt(0)
	v_cmp_eq_u64_e32 vcc, 0, v[2:3]
	s_cbranch_vccnz .LBB0_75
; %bb.74:                               ;   in Loop: Header=BB0_3 Depth=1
	global_load_dword v28, v[0:1], off offset:24
	s_waitcnt vmcnt(0)
	v_readfirstlane_b32 s18, v28
	s_and_b32 m0, s18, 0xffffff
	global_store_dwordx2 v[2:3], v[28:29], off
	s_sendmsg sendmsg(MSG_INTERRUPT)
.LBB0_75:                               ;   in Loop: Header=BB0_3 Depth=1
	s_or_b64 exec, exec, s[16:17]
	v_add_co_u32_e32 v0, vcc, v27, v36
	v_addc_co_u32_e32 v1, vcc, 0, v35, vcc
	s_branch .LBB0_79
.LBB0_76:                               ;   in Loop: Header=BB0_79 Depth=2
	s_or_b64 exec, exec, s[16:17]
	v_readfirstlane_b32 s16, v2
	s_cmp_eq_u32 s16, 0
	s_cbranch_scc1 .LBB0_78
; %bb.77:                               ;   in Loop: Header=BB0_79 Depth=2
	s_sleep 1
	s_cbranch_execnz .LBB0_79
	s_branch .LBB0_81
.LBB0_78:                               ;   in Loop: Header=BB0_3 Depth=1
	s_branch .LBB0_81
.LBB0_79:                               ;   Parent Loop BB0_3 Depth=1
                                        ; =>  This Inner Loop Header: Depth=2
	v_mov_b32_e32 v2, 1
	s_and_saveexec_b64 s[16:17], s[4:5]
	s_cbranch_execz .LBB0_76
; %bb.80:                               ;   in Loop: Header=BB0_79 Depth=2
	global_load_dword v2, v[32:33], off offset:20 glc
	s_waitcnt vmcnt(0)
	buffer_wbinvl1_vol
	v_and_b32_e32 v2, 1, v2
	s_branch .LBB0_76
.LBB0_81:                               ;   in Loop: Header=BB0_3 Depth=1
	global_load_dwordx4 v[0:3], v[0:1], off
	s_and_saveexec_b64 s[16:17], s[4:5]
	s_cbranch_execz .LBB0_2
; %bb.82:                               ;   in Loop: Header=BB0_3 Depth=1
	global_load_dwordx2 v[2:3], v29, s[12:13] offset:40
	global_load_dwordx2 v[17:18], v29, s[12:13] offset:24 glc
	global_load_dwordx2 v[9:10], v29, s[12:13]
	s_waitcnt vmcnt(2)
	v_readfirstlane_b32 s18, v2
	v_readfirstlane_b32 s19, v3
	s_add_u32 s20, s18, 1
	s_addc_u32 s21, s19, 0
	s_add_u32 s4, s20, s14
	s_addc_u32 s5, s21, s15
	s_cmp_eq_u64 s[4:5], 0
	s_cselect_b32 s5, s21, s5
	s_cselect_b32 s4, s20, s4
	s_and_b64 s[14:15], s[4:5], s[18:19]
	s_mul_i32 s15, s15, 24
	s_mul_hi_u32 s18, s14, 24
	s_mul_i32 s14, s14, 24
	s_add_i32 s15, s18, s15
	v_mov_b32_e32 v3, s15
	s_waitcnt vmcnt(0)
	v_add_co_u32_e32 v2, vcc, s14, v9
	v_addc_co_u32_e32 v3, vcc, v10, v3, vcc
	v_mov_b32_e32 v15, s4
	global_store_dwordx2 v[2:3], v[17:18], off
	v_mov_b32_e32 v16, s5
	s_waitcnt vmcnt(0)
	global_atomic_cmpswap_x2 v[15:16], v29, v[15:18], s[12:13] offset:24 glc
	s_waitcnt vmcnt(0)
	v_cmp_ne_u64_e32 vcc, v[15:16], v[17:18]
	s_and_b64 exec, exec, vcc
	s_cbranch_execz .LBB0_2
; %bb.83:                               ;   in Loop: Header=BB0_3 Depth=1
	s_mov_b64 s[14:15], 0
.LBB0_84:                               ;   Parent Loop BB0_3 Depth=1
                                        ; =>  This Inner Loop Header: Depth=2
	s_sleep 1
	global_store_dwordx2 v[2:3], v[15:16], off
	v_mov_b32_e32 v13, s4
	v_mov_b32_e32 v14, s5
	s_waitcnt vmcnt(0)
	global_atomic_cmpswap_x2 v[9:10], v29, v[13:16], s[12:13] offset:24 glc
	s_waitcnt vmcnt(0)
	v_cmp_eq_u64_e32 vcc, v[9:10], v[15:16]
	v_mov_b32_e32 v16, v10
	s_or_b64 s[14:15], vcc, s[14:15]
	v_mov_b32_e32 v15, v9
	s_andn2_b64 exec, exec, s[14:15]
	s_cbranch_execnz .LBB0_84
	s_branch .LBB0_2
.LBB0_85:
	s_or_b64 exec, exec, s[6:7]
                                        ; implicit-def: $vgpr0
                                        ; implicit-def: $vgpr1
                                        ; implicit-def: $vgpr2
.LBB0_86:
	s_andn2_saveexec_b64 s[6:7], s[10:11]
	s_cbranch_execz .LBB0_109
; %bb.87:
	s_load_dwordx2 s[8:9], s[8:9], 0x50
	s_waitcnt vmcnt(0)
	v_mbcnt_hi_u32_b32 v3, -1, v2
	v_readfirstlane_b32 s4, v3
	v_mov_b32_e32 v8, 0
	v_mov_b32_e32 v9, 0
	v_cmp_eq_u32_e64 s[4:5], s4, v3
	s_and_saveexec_b64 s[10:11], s[4:5]
	s_cbranch_execz .LBB0_93
; %bb.88:
	v_mov_b32_e32 v2, 0
	s_waitcnt lgkmcnt(0)
	global_load_dwordx2 v[6:7], v2, s[8:9] offset:24 glc
	s_waitcnt vmcnt(0)
	buffer_wbinvl1_vol
	global_load_dwordx2 v[4:5], v2, s[8:9] offset:40
	global_load_dwordx2 v[8:9], v2, s[8:9]
	s_waitcnt vmcnt(1)
	v_and_b32_e32 v4, v4, v6
	v_and_b32_e32 v5, v5, v7
	v_mul_lo_u32 v5, v5, 24
	v_mul_hi_u32 v10, v4, 24
	v_mul_lo_u32 v4, v4, 24
	v_add_u32_e32 v5, v10, v5
	s_waitcnt vmcnt(0)
	v_add_co_u32_e32 v4, vcc, v8, v4
	v_addc_co_u32_e32 v5, vcc, v9, v5, vcc
	global_load_dwordx2 v[4:5], v[4:5], off glc
	s_waitcnt vmcnt(0)
	global_atomic_cmpswap_x2 v[8:9], v2, v[4:7], s[8:9] offset:24 glc
	s_waitcnt vmcnt(0)
	buffer_wbinvl1_vol
	v_cmp_ne_u64_e32 vcc, v[8:9], v[6:7]
	s_and_saveexec_b64 s[12:13], vcc
	s_cbranch_execz .LBB0_92
; %bb.89:
	s_mov_b64 s[14:15], 0
.LBB0_90:                               ; =>This Inner Loop Header: Depth=1
	s_sleep 1
	global_load_dwordx2 v[4:5], v2, s[8:9] offset:40
	global_load_dwordx2 v[10:11], v2, s[8:9]
	v_mov_b32_e32 v6, v8
	v_mov_b32_e32 v7, v9
	s_waitcnt vmcnt(1)
	v_and_b32_e32 v4, v4, v6
	s_waitcnt vmcnt(0)
	v_mad_u64_u32 v[8:9], s[16:17], v4, 24, v[10:11]
	v_and_b32_e32 v5, v5, v7
	v_mov_b32_e32 v4, v9
	v_mad_u64_u32 v[4:5], s[16:17], v5, 24, v[4:5]
	v_mov_b32_e32 v9, v4
	global_load_dwordx2 v[4:5], v[8:9], off glc
	s_waitcnt vmcnt(0)
	global_atomic_cmpswap_x2 v[8:9], v2, v[4:7], s[8:9] offset:24 glc
	s_waitcnt vmcnt(0)
	buffer_wbinvl1_vol
	v_cmp_eq_u64_e32 vcc, v[8:9], v[6:7]
	s_or_b64 s[14:15], vcc, s[14:15]
	s_andn2_b64 exec, exec, s[14:15]
	s_cbranch_execnz .LBB0_90
; %bb.91:
	s_or_b64 exec, exec, s[14:15]
.LBB0_92:
	s_or_b64 exec, exec, s[12:13]
.LBB0_93:
	s_or_b64 exec, exec, s[10:11]
	v_mov_b32_e32 v2, 0
	s_waitcnt lgkmcnt(0)
	global_load_dwordx2 v[10:11], v2, s[8:9] offset:40
	global_load_dwordx4 v[4:7], v2, s[8:9]
	v_readfirstlane_b32 s11, v9
	v_readfirstlane_b32 s10, v8
	s_mov_b64 s[12:13], exec
	s_waitcnt vmcnt(1)
	v_readfirstlane_b32 s14, v10
	v_readfirstlane_b32 s15, v11
	s_and_b64 s[14:15], s[14:15], s[10:11]
	s_mul_i32 s16, s15, 24
	s_mul_hi_u32 s17, s14, 24
	s_mul_i32 s18, s14, 24
	s_add_i32 s16, s17, s16
	v_mov_b32_e32 v9, s16
	s_waitcnt vmcnt(0)
	v_add_co_u32_e32 v8, vcc, s18, v4
	v_addc_co_u32_e32 v9, vcc, v5, v9, vcc
	s_and_saveexec_b64 s[16:17], s[4:5]
	s_cbranch_execz .LBB0_95
; %bb.94:
	v_mov_b32_e32 v10, s12
	v_mov_b32_e32 v11, s13
	;; [unrolled: 1-line block ×4, first 2 shown]
	global_store_dwordx4 v[8:9], v[10:13], off offset:8
.LBB0_95:
	s_or_b64 exec, exec, s[16:17]
	s_lshl_b64 s[12:13], s[14:15], 12
	v_mov_b32_e32 v10, s13
	v_add_co_u32_e32 v6, vcc, s12, v6
	v_addc_co_u32_e32 v7, vcc, v7, v10, vcc
	s_movk_i32 s12, 0xff1f
	v_and_or_b32 v0, v0, s12, 32
	v_lshlrev_b32_e32 v10, 6, v3
	s_mov_b32 s12, 0
	v_mov_b32_e32 v3, v2
	v_readfirstlane_b32 s16, v6
	v_readfirstlane_b32 s17, v7
	s_mov_b32 s13, s12
	s_mov_b32 s14, s12
	;; [unrolled: 1-line block ×3, first 2 shown]
	s_nop 1
	global_store_dwordx4 v10, v[0:3], s[16:17]
	s_nop 0
	v_mov_b32_e32 v0, s12
	v_mov_b32_e32 v1, s13
	;; [unrolled: 1-line block ×4, first 2 shown]
	global_store_dwordx4 v10, v[0:3], s[16:17] offset:16
	global_store_dwordx4 v10, v[0:3], s[16:17] offset:32
	;; [unrolled: 1-line block ×3, first 2 shown]
	s_and_saveexec_b64 s[12:13], s[4:5]
	s_cbranch_execz .LBB0_103
; %bb.96:
	v_mov_b32_e32 v6, 0
	global_load_dwordx2 v[12:13], v6, s[8:9] offset:32 glc
	global_load_dwordx2 v[0:1], v6, s[8:9] offset:40
	v_mov_b32_e32 v10, s10
	v_mov_b32_e32 v11, s11
	s_waitcnt vmcnt(0)
	v_and_b32_e32 v0, s10, v0
	v_and_b32_e32 v1, s11, v1
	v_mul_lo_u32 v1, v1, 24
	v_mul_hi_u32 v2, v0, 24
	v_mul_lo_u32 v0, v0, 24
	v_add_u32_e32 v1, v2, v1
	v_add_co_u32_e32 v4, vcc, v4, v0
	v_addc_co_u32_e32 v5, vcc, v5, v1, vcc
	global_store_dwordx2 v[4:5], v[12:13], off
	s_waitcnt vmcnt(0)
	global_atomic_cmpswap_x2 v[2:3], v6, v[10:13], s[8:9] offset:32 glc
	s_waitcnt vmcnt(0)
	v_cmp_ne_u64_e32 vcc, v[2:3], v[12:13]
	s_and_saveexec_b64 s[14:15], vcc
	s_cbranch_execz .LBB0_99
; %bb.97:
	s_mov_b64 s[16:17], 0
.LBB0_98:                               ; =>This Inner Loop Header: Depth=1
	s_sleep 1
	global_store_dwordx2 v[4:5], v[2:3], off
	v_mov_b32_e32 v0, s10
	v_mov_b32_e32 v1, s11
	s_waitcnt vmcnt(0)
	global_atomic_cmpswap_x2 v[0:1], v6, v[0:3], s[8:9] offset:32 glc
	s_waitcnt vmcnt(0)
	v_cmp_eq_u64_e32 vcc, v[0:1], v[2:3]
	v_mov_b32_e32 v3, v1
	s_or_b64 s[16:17], vcc, s[16:17]
	v_mov_b32_e32 v2, v0
	s_andn2_b64 exec, exec, s[16:17]
	s_cbranch_execnz .LBB0_98
.LBB0_99:
	s_or_b64 exec, exec, s[14:15]
	v_mov_b32_e32 v3, 0
	global_load_dwordx2 v[0:1], v3, s[8:9] offset:16
	s_mov_b64 s[14:15], exec
	v_mbcnt_lo_u32_b32 v2, s14, 0
	v_mbcnt_hi_u32_b32 v2, s15, v2
	v_cmp_eq_u32_e32 vcc, 0, v2
	s_and_saveexec_b64 s[16:17], vcc
	s_cbranch_execz .LBB0_101
; %bb.100:
	s_bcnt1_i32_b64 s14, s[14:15]
	v_mov_b32_e32 v2, s14
	s_waitcnt vmcnt(0)
	global_atomic_add_x2 v[0:1], v[2:3], off offset:8
.LBB0_101:
	s_or_b64 exec, exec, s[16:17]
	s_waitcnt vmcnt(0)
	global_load_dwordx2 v[2:3], v[0:1], off offset:16
	s_waitcnt vmcnt(0)
	v_cmp_eq_u64_e32 vcc, 0, v[2:3]
	s_cbranch_vccnz .LBB0_103
; %bb.102:
	global_load_dword v0, v[0:1], off offset:24
	v_mov_b32_e32 v1, 0
	s_waitcnt vmcnt(0)
	v_readfirstlane_b32 s14, v0
	s_and_b32 m0, s14, 0xffffff
	global_store_dwordx2 v[2:3], v[0:1], off
	s_sendmsg sendmsg(MSG_INTERRUPT)
.LBB0_103:
	s_or_b64 exec, exec, s[12:13]
	s_branch .LBB0_107
.LBB0_104:                              ;   in Loop: Header=BB0_107 Depth=1
	s_or_b64 exec, exec, s[12:13]
	v_readfirstlane_b32 s12, v0
	s_cmp_eq_u32 s12, 0
	s_cbranch_scc1 .LBB0_106
; %bb.105:                              ;   in Loop: Header=BB0_107 Depth=1
	s_sleep 1
	s_cbranch_execnz .LBB0_107
	s_branch .LBB0_110
.LBB0_106:
	s_branch .LBB0_110
.LBB0_107:                              ; =>This Inner Loop Header: Depth=1
	v_mov_b32_e32 v0, 1
	s_and_saveexec_b64 s[12:13], s[4:5]
	s_cbranch_execz .LBB0_104
; %bb.108:                              ;   in Loop: Header=BB0_107 Depth=1
	global_load_dword v0, v[8:9], off offset:20 glc
	s_waitcnt vmcnt(0)
	buffer_wbinvl1_vol
	v_and_b32_e32 v0, 1, v0
	s_branch .LBB0_104
.LBB0_109:
	s_or_b64 exec, exec, s[6:7]
	s_waitcnt vmcnt(0) lgkmcnt(0)
	s_setpc_b64 s[30:31]
.LBB0_110:
	s_and_saveexec_b64 s[12:13], s[4:5]
	s_cbranch_execz .LBB0_113
; %bb.111:
	v_mov_b32_e32 v6, 0
	global_load_dwordx2 v[0:1], v6, s[8:9] offset:40
	global_load_dwordx2 v[9:10], v6, s[8:9] offset:24 glc
	global_load_dwordx2 v[2:3], v6, s[8:9]
	s_waitcnt vmcnt(2)
	v_readfirstlane_b32 s14, v0
	v_readfirstlane_b32 s15, v1
	s_add_u32 s16, s14, 1
	s_addc_u32 s17, s15, 0
	s_add_u32 s4, s16, s10
	s_addc_u32 s5, s17, s11
	s_cmp_eq_u64 s[4:5], 0
	s_cselect_b32 s5, s17, s5
	s_cselect_b32 s4, s16, s4
	s_and_b64 s[10:11], s[4:5], s[14:15]
	s_mul_i32 s11, s11, 24
	s_mul_hi_u32 s14, s10, 24
	s_mul_i32 s10, s10, 24
	s_add_i32 s11, s14, s11
	v_mov_b32_e32 v0, s11
	s_waitcnt vmcnt(0)
	v_add_co_u32_e32 v4, vcc, s10, v2
	v_addc_co_u32_e32 v5, vcc, v3, v0, vcc
	v_mov_b32_e32 v7, s4
	global_store_dwordx2 v[4:5], v[9:10], off
	v_mov_b32_e32 v8, s5
	s_waitcnt vmcnt(0)
	global_atomic_cmpswap_x2 v[2:3], v6, v[7:10], s[8:9] offset:24 glc
	s_mov_b64 s[10:11], 0
	s_waitcnt vmcnt(0)
	v_cmp_ne_u64_e32 vcc, v[2:3], v[9:10]
	s_and_b64 exec, exec, vcc
	s_cbranch_execz .LBB0_113
.LBB0_112:                              ; =>This Inner Loop Header: Depth=1
	s_sleep 1
	global_store_dwordx2 v[4:5], v[2:3], off
	v_mov_b32_e32 v0, s4
	v_mov_b32_e32 v1, s5
	s_waitcnt vmcnt(0)
	global_atomic_cmpswap_x2 v[0:1], v6, v[0:3], s[8:9] offset:24 glc
	s_waitcnt vmcnt(0)
	v_cmp_eq_u64_e32 vcc, v[0:1], v[2:3]
	v_mov_b32_e32 v3, v1
	s_or_b64 s[10:11], vcc, s[10:11]
	v_mov_b32_e32 v2, v0
	s_andn2_b64 exec, exec, s[10:11]
	s_cbranch_execnz .LBB0_112
.LBB0_113:
	s_or_b64 exec, exec, s[12:13]
	s_or_b64 exec, exec, s[6:7]
	s_waitcnt vmcnt(0) lgkmcnt(0)
	s_setpc_b64 s[30:31]
.Lfunc_end0:
	.size	__ockl_fprintf_append_string_n, .Lfunc_end0-__ockl_fprintf_append_string_n
                                        ; -- End function
	.set .L__ockl_fprintf_append_string_n.num_vgpr, 37
	.set .L__ockl_fprintf_append_string_n.num_agpr, 0
	.set .L__ockl_fprintf_append_string_n.numbered_sgpr, 32
	.set .L__ockl_fprintf_append_string_n.num_named_barrier, 0
	.set .L__ockl_fprintf_append_string_n.private_seg_size, 0
	.set .L__ockl_fprintf_append_string_n.uses_vcc, 1
	.set .L__ockl_fprintf_append_string_n.uses_flat_scratch, 0
	.set .L__ockl_fprintf_append_string_n.has_dyn_sized_stack, 0
	.set .L__ockl_fprintf_append_string_n.has_recursion, 0
	.set .L__ockl_fprintf_append_string_n.has_indirect_call, 0
	.section	.AMDGPU.csdata,"",@progbits
; Function info:
; codeLenInByte = 3868
; TotalNumSgprs: 36
; NumVgprs: 37
; ScratchSize: 0
; MemoryBound: 0
	.text
	.p2align	2                               ; -- Begin function __assert_fail
	.type	__assert_fail,@function
__assert_fail:                          ; @__assert_fail
; %bb.0:
	s_waitcnt vmcnt(0) expcnt(0) lgkmcnt(0)
	s_mov_b32 s25, s33
	s_mov_b32 s33, s32
	s_or_saveexec_b64 s[4:5], -1
	buffer_store_dword v40, off, s[0:3], s33 offset:48 ; 4-byte Folded Spill
	s_mov_b64 exec, s[4:5]
	v_writelane_b32 v40, s30, 0
	s_addk_i32 s32, 0x1000
	v_writelane_b32 v40, s31, 1
	v_mov_b32_e32 v6, v3
	v_mov_b32_e32 v3, 0
	s_getpc_b64 s[4:5]
	s_add_u32 s4, s4, __const.__assert_fail.fmt@rel32@lo+35
	s_addc_u32 s5, s5, __const.__assert_fail.fmt@rel32@hi+43
	global_load_dwordx4 v[10:13], v3, s[4:5]
	s_getpc_b64 s[16:17]
	s_add_u32 s16, s16, __const.__assert_fail.fmt@rel32@lo+4
	s_addc_u32 s17, s17, __const.__assert_fail.fmt@rel32@hi+12
	s_getpc_b64 s[18:19]
	s_add_u32 s18, s18, __const.__assert_fail.fmt@rel32@lo+20
	s_addc_u32 s19, s19, __const.__assert_fail.fmt@rel32@hi+28
	v_mov_b32_e32 v7, v4
	v_mbcnt_lo_u32_b32 v4, -1, 0
	s_load_dwordx4 s[4:7], s[16:17], 0x0
	s_load_dwordx4 s[12:15], s[18:19], 0x0
	s_load_dwordx2 s[10:11], s[8:9], 0x50
	v_mbcnt_hi_u32_b32 v38, -1, v4
	v_mov_b32_e32 v9, v1
	v_mov_b32_e32 v8, v0
	;; [unrolled: 1-line block ×3, first 2 shown]
	v_readfirstlane_b32 s16, v38
	v_mov_b32_e32 v1, 0
	s_waitcnt lgkmcnt(0)
	v_mov_b32_e32 v4, s7
	v_mov_b32_e32 v14, s5
	;; [unrolled: 1-line block ×3, first 2 shown]
	v_cmp_eq_u32_e64 s[4:5], s16, v38
	v_mov_b32_e32 v5, s6
	v_mov_b32_e32 v16, s15
	;; [unrolled: 1-line block ×5, first 2 shown]
	buffer_store_dword v4, off, s[0:3], s33 offset:12
	buffer_store_dword v5, off, s[0:3], s33 offset:8
	;; [unrolled: 1-line block ×3, first 2 shown]
	buffer_store_dword v15, off, s[0:3], s33
	buffer_store_dword v16, off, s[0:3], s33 offset:28
	buffer_store_dword v17, off, s[0:3], s33 offset:24
	;; [unrolled: 1-line block ×4, first 2 shown]
	s_waitcnt vmcnt(8)
	buffer_store_dword v13, off, s[0:3], s33 offset:43
	buffer_store_dword v12, off, s[0:3], s33 offset:39
	buffer_store_dword v11, off, s[0:3], s33 offset:35
	buffer_store_dword v10, off, s[0:3], s33 offset:31
	s_and_saveexec_b64 s[6:7], s[4:5]
	s_cbranch_execz .LBB1_6
; %bb.1:
	global_load_dwordx2 v[12:13], v3, s[10:11] offset:24 glc
	s_waitcnt vmcnt(0)
	buffer_wbinvl1_vol
	global_load_dwordx2 v[0:1], v3, s[10:11] offset:40
	global_load_dwordx2 v[4:5], v3, s[10:11]
	s_waitcnt vmcnt(1)
	v_and_b32_e32 v0, v0, v12
	v_and_b32_e32 v1, v1, v13
	v_mul_lo_u32 v1, v1, 24
	v_mul_hi_u32 v10, v0, 24
	v_mul_lo_u32 v0, v0, 24
	v_add_u32_e32 v1, v10, v1
	s_waitcnt vmcnt(0)
	v_add_co_u32_e32 v0, vcc, v4, v0
	v_addc_co_u32_e32 v1, vcc, v5, v1, vcc
	global_load_dwordx2 v[10:11], v[0:1], off glc
	s_waitcnt vmcnt(0)
	global_atomic_cmpswap_x2 v[0:1], v3, v[10:13], s[10:11] offset:24 glc
	s_waitcnt vmcnt(0)
	buffer_wbinvl1_vol
	v_cmp_ne_u64_e32 vcc, v[0:1], v[12:13]
	s_and_saveexec_b64 s[12:13], vcc
	s_cbranch_execz .LBB1_5
; %bb.2:
	s_mov_b64 s[14:15], 0
	v_mov_b32_e32 v4, 0
.LBB1_3:                                ; =>This Inner Loop Header: Depth=1
	s_sleep 1
	global_load_dwordx2 v[10:11], v4, s[10:11] offset:40
	global_load_dwordx2 v[14:15], v4, s[10:11]
	v_mov_b32_e32 v13, v1
	v_mov_b32_e32 v12, v0
	s_waitcnt vmcnt(1)
	v_and_b32_e32 v0, v10, v12
	s_waitcnt vmcnt(0)
	v_mad_u64_u32 v[0:1], s[16:17], v0, 24, v[14:15]
	v_and_b32_e32 v5, v11, v13
	v_mad_u64_u32 v[10:11], s[16:17], v5, 24, v[1:2]
	v_mov_b32_e32 v1, v10
	global_load_dwordx2 v[10:11], v[0:1], off glc
	s_waitcnt vmcnt(0)
	global_atomic_cmpswap_x2 v[0:1], v4, v[10:13], s[10:11] offset:24 glc
	s_waitcnt vmcnt(0)
	buffer_wbinvl1_vol
	v_cmp_eq_u64_e32 vcc, v[0:1], v[12:13]
	s_or_b64 s[14:15], vcc, s[14:15]
	s_andn2_b64 exec, exec, s[14:15]
	s_cbranch_execnz .LBB1_3
; %bb.4:
	s_or_b64 exec, exec, s[14:15]
.LBB1_5:
	s_or_b64 exec, exec, s[12:13]
.LBB1_6:
	s_or_b64 exec, exec, s[6:7]
	global_load_dwordx2 v[4:5], v3, s[10:11] offset:40
	global_load_dwordx4 v[10:13], v3, s[10:11]
	v_readfirstlane_b32 s7, v1
	v_readfirstlane_b32 s6, v0
	s_mov_b64 s[12:13], exec
	s_waitcnt vmcnt(1)
	v_readfirstlane_b32 s14, v4
	v_readfirstlane_b32 s15, v5
	s_and_b64 s[14:15], s[14:15], s[6:7]
	s_mul_i32 s16, s15, 24
	s_mul_hi_u32 s17, s14, 24
	s_mul_i32 s18, s14, 24
	s_add_i32 s16, s17, s16
	v_mov_b32_e32 v1, s16
	s_waitcnt vmcnt(0)
	v_add_co_u32_e32 v0, vcc, s18, v10
	v_addc_co_u32_e32 v1, vcc, v11, v1, vcc
	s_and_saveexec_b64 s[16:17], s[4:5]
	s_cbranch_execz .LBB1_8
; %bb.7:
	v_mov_b32_e32 v15, s13
	v_mov_b32_e32 v14, s12
	;; [unrolled: 1-line block ×4, first 2 shown]
	global_store_dwordx4 v[0:1], v[14:17], off offset:8
.LBB1_8:
	s_or_b64 exec, exec, s[16:17]
	s_lshl_b64 s[12:13], s[14:15], 12
	v_mov_b32_e32 v3, s13
	v_add_co_u32_e32 v5, vcc, s12, v12
	v_addc_co_u32_e32 v16, vcc, v13, v3, vcc
	v_mov_b32_e32 v13, 0
	v_lshlrev_b32_e32 v39, 6, v38
	s_mov_b32 s12, 0
	v_add_co_u32_e32 v3, vcc, v5, v39
	v_mov_b32_e32 v12, 33
	v_mov_b32_e32 v14, 1
	v_mov_b32_e32 v15, v13
	v_readfirstlane_b32 s16, v5
	v_readfirstlane_b32 s17, v16
	s_mov_b32 s15, s12
	v_addc_co_u32_e32 v4, vcc, 0, v16, vcc
	s_mov_b32 s13, s12
	s_mov_b32 s14, s12
	s_nop 0
	global_store_dwordx4 v39, v[12:15], s[16:17]
	v_mov_b32_e32 v17, s15
	v_mov_b32_e32 v16, s14
	;; [unrolled: 1-line block ×4, first 2 shown]
	global_store_dwordx4 v39, v[14:17], s[16:17] offset:16
	global_store_dwordx4 v39, v[14:17], s[16:17] offset:32
	;; [unrolled: 1-line block ×3, first 2 shown]
	s_and_saveexec_b64 s[12:13], s[4:5]
	s_cbranch_execz .LBB1_16
; %bb.9:
	global_load_dwordx2 v[18:19], v13, s[10:11] offset:32 glc
	global_load_dwordx2 v[14:15], v13, s[10:11] offset:40
	v_mov_b32_e32 v16, s6
	v_mov_b32_e32 v17, s7
	s_waitcnt vmcnt(0)
	v_and_b32_e32 v5, s6, v14
	v_and_b32_e32 v12, s7, v15
	v_mul_lo_u32 v12, v12, 24
	v_mul_hi_u32 v14, v5, 24
	v_mul_lo_u32 v5, v5, 24
	v_add_u32_e32 v12, v14, v12
	v_add_co_u32_e32 v14, vcc, v10, v5
	v_addc_co_u32_e32 v15, vcc, v11, v12, vcc
	global_store_dwordx2 v[14:15], v[18:19], off
	s_waitcnt vmcnt(0)
	global_atomic_cmpswap_x2 v[12:13], v13, v[16:19], s[10:11] offset:32 glc
	s_waitcnt vmcnt(0)
	v_cmp_ne_u64_e32 vcc, v[12:13], v[18:19]
	s_and_saveexec_b64 s[14:15], vcc
	s_cbranch_execz .LBB1_12
; %bb.10:
	s_mov_b64 s[16:17], 0
	v_mov_b32_e32 v5, 0
.LBB1_11:                               ; =>This Inner Loop Header: Depth=1
	s_sleep 1
	global_store_dwordx2 v[14:15], v[12:13], off
	v_mov_b32_e32 v10, s6
	v_mov_b32_e32 v11, s7
	s_waitcnt vmcnt(0)
	global_atomic_cmpswap_x2 v[10:11], v5, v[10:13], s[10:11] offset:32 glc
	s_waitcnt vmcnt(0)
	v_cmp_eq_u64_e32 vcc, v[10:11], v[12:13]
	v_mov_b32_e32 v13, v11
	s_or_b64 s[16:17], vcc, s[16:17]
	v_mov_b32_e32 v12, v10
	s_andn2_b64 exec, exec, s[16:17]
	s_cbranch_execnz .LBB1_11
.LBB1_12:
	s_or_b64 exec, exec, s[14:15]
	v_mov_b32_e32 v13, 0
	global_load_dwordx2 v[10:11], v13, s[10:11] offset:16
	s_mov_b64 s[14:15], exec
	v_mbcnt_lo_u32_b32 v5, s14, 0
	v_mbcnt_hi_u32_b32 v5, s15, v5
	v_cmp_eq_u32_e32 vcc, 0, v5
	s_and_saveexec_b64 s[16:17], vcc
	s_cbranch_execz .LBB1_14
; %bb.13:
	s_bcnt1_i32_b64 s14, s[14:15]
	v_mov_b32_e32 v12, s14
	s_waitcnt vmcnt(0)
	global_atomic_add_x2 v[10:11], v[12:13], off offset:8
.LBB1_14:
	s_or_b64 exec, exec, s[16:17]
	s_waitcnt vmcnt(0)
	global_load_dwordx2 v[12:13], v[10:11], off offset:16
	s_waitcnt vmcnt(0)
	v_cmp_eq_u64_e32 vcc, 0, v[12:13]
	s_cbranch_vccnz .LBB1_16
; %bb.15:
	global_load_dword v10, v[10:11], off offset:24
	v_mov_b32_e32 v11, 0
	s_waitcnt vmcnt(0)
	v_readfirstlane_b32 s14, v10
	s_and_b32 m0, s14, 0xffffff
	global_store_dwordx2 v[12:13], v[10:11], off
	s_sendmsg sendmsg(MSG_INTERRUPT)
.LBB1_16:
	s_or_b64 exec, exec, s[12:13]
	s_branch .LBB1_20
.LBB1_17:                               ;   in Loop: Header=BB1_20 Depth=1
	s_or_b64 exec, exec, s[12:13]
	v_readfirstlane_b32 s12, v5
	s_cmp_eq_u32 s12, 0
	s_cbranch_scc1 .LBB1_19
; %bb.18:                               ;   in Loop: Header=BB1_20 Depth=1
	s_sleep 1
	s_cbranch_execnz .LBB1_20
	s_branch .LBB1_22
.LBB1_19:
	s_branch .LBB1_22
.LBB1_20:                               ; =>This Inner Loop Header: Depth=1
	v_mov_b32_e32 v5, 1
	s_and_saveexec_b64 s[12:13], s[4:5]
	s_cbranch_execz .LBB1_17
; %bb.21:                               ;   in Loop: Header=BB1_20 Depth=1
	global_load_dword v5, v[0:1], off offset:20 glc
	s_waitcnt vmcnt(0)
	buffer_wbinvl1_vol
	v_and_b32_e32 v5, 1, v5
	s_branch .LBB1_17
.LBB1_22:
	global_load_dwordx2 v[14:15], v[3:4], off
	s_and_saveexec_b64 s[12:13], s[4:5]
	s_cbranch_execz .LBB1_25
; %bb.23:
	v_mov_b32_e32 v3, 0
	global_load_dwordx2 v[0:1], v3, s[10:11] offset:40
	global_load_dwordx2 v[18:19], v3, s[10:11] offset:24 glc
	global_load_dwordx2 v[4:5], v3, s[10:11]
	s_waitcnt vmcnt(2)
	v_readfirstlane_b32 s14, v0
	v_readfirstlane_b32 s15, v1
	s_add_u32 s16, s14, 1
	s_addc_u32 s17, s15, 0
	s_add_u32 s4, s16, s6
	s_addc_u32 s5, s17, s7
	s_cmp_eq_u64 s[4:5], 0
	s_cselect_b32 s5, s17, s5
	s_cselect_b32 s4, s16, s4
	s_and_b64 s[6:7], s[4:5], s[14:15]
	s_mul_i32 s7, s7, 24
	s_mul_hi_u32 s14, s6, 24
	s_mul_i32 s6, s6, 24
	s_add_i32 s7, s14, s7
	v_mov_b32_e32 v1, s7
	s_waitcnt vmcnt(0)
	v_add_co_u32_e32 v0, vcc, s6, v4
	v_addc_co_u32_e32 v1, vcc, v5, v1, vcc
	v_mov_b32_e32 v16, s4
	global_store_dwordx2 v[0:1], v[18:19], off
	v_mov_b32_e32 v17, s5
	s_waitcnt vmcnt(0)
	global_atomic_cmpswap_x2 v[12:13], v3, v[16:19], s[10:11] offset:24 glc
	s_mov_b64 s[6:7], 0
	s_waitcnt vmcnt(0)
	v_cmp_ne_u64_e32 vcc, v[12:13], v[18:19]
	s_and_b64 exec, exec, vcc
	s_cbranch_execz .LBB1_25
.LBB1_24:                               ; =>This Inner Loop Header: Depth=1
	s_sleep 1
	global_store_dwordx2 v[0:1], v[12:13], off
	v_mov_b32_e32 v10, s4
	v_mov_b32_e32 v11, s5
	s_waitcnt vmcnt(0)
	global_atomic_cmpswap_x2 v[4:5], v3, v[10:13], s[10:11] offset:24 glc
	s_waitcnt vmcnt(0)
	v_cmp_eq_u64_e32 vcc, v[4:5], v[12:13]
	v_mov_b32_e32 v13, v5
	s_or_b64 s[6:7], vcc, s[6:7]
	v_mov_b32_e32 v12, v4
	s_andn2_b64 exec, exec, s[6:7]
	s_cbranch_execnz .LBB1_24
.LBB1_25:
	s_or_b64 exec, exec, s[12:13]
	s_lshr_b32 s6, s33, 6
	s_mov_b64 s[4:5], 0
.LBB1_26:                               ; =>This Inner Loop Header: Depth=1
	v_mov_b32_e32 v0, s6
	buffer_load_ubyte v1, v0, s[0:3], 0 offen
	s_add_i32 s6, s6, 1
	v_mov_b32_e32 v0, s6
	s_waitcnt vmcnt(0)
	v_cmp_eq_u16_e32 vcc, 0, v1
	s_or_b64 s[4:5], vcc, s[4:5]
	s_andn2_b64 exec, exec, s[4:5]
	s_cbranch_execnz .LBB1_26
; %bb.27:
	s_or_b64 exec, exec, s[4:5]
	s_lshr_b32 s4, s33, 6
	s_cmp_lg_u32 s4, -1
	s_cbranch_scc0 .LBB1_112
; %bb.28:
	v_lshrrev_b32_e64 v1, 6, s33
	v_subrev_u32_e32 v0, v1, v0
	v_ashrrev_i32_e32 v1, 31, v0
	v_and_b32_e32 v5, 2, v14
	v_mov_b32_e32 v4, 0
	v_and_b32_e32 v10, -3, v14
	v_mov_b32_e32 v11, v15
	s_mov_b64 s[12:13], 0
	v_lshrrev_b32_e64 v48, 6, s33
	s_mov_b32 s20, 0
	s_movk_i32 s21, 0x1e0
	v_mov_b32_e32 v18, 2
	v_mov_b32_e32 v19, 1
	s_branch .LBB1_30
.LBB1_29:                               ;   in Loop: Header=BB1_30 Depth=1
	s_or_b64 exec, exec, s[6:7]
	v_sub_co_u32_e32 v0, vcc, v0, v49
	v_subb_co_u32_e32 v1, vcc, v1, v50, vcc
	v_cmp_eq_u64_e32 vcc, 0, v[0:1]
	v_add_u32_e32 v48, v48, v49
	s_or_b64 s[12:13], vcc, s[12:13]
	s_andn2_b64 exec, exec, s[12:13]
	s_cbranch_execz .LBB1_113
.LBB1_30:                               ; =>This Loop Header: Depth=1
                                        ;     Child Loop BB1_33 Depth 2
                                        ;     Child Loop BB1_41 Depth 2
	;; [unrolled: 1-line block ×11, first 2 shown]
	v_cmp_gt_u64_e32 vcc, 56, v[0:1]
	v_cmp_gt_u64_e64 s[4:5], 8, v[0:1]
	v_cndmask_b32_e32 v49, 56, v0, vcc
	v_add_u32_e32 v16, 8, v48
	s_and_saveexec_b64 s[6:7], s[4:5]
	s_xor_b64 s[6:7], exec, s[6:7]
	s_cbranch_execz .LBB1_36
; %bb.31:                               ;   in Loop: Header=BB1_30 Depth=1
	v_mov_b32_e32 v12, 0
	v_cmp_ne_u64_e64 s[4:5], 0, v[0:1]
	v_mov_b32_e32 v13, 0
	s_and_saveexec_b64 s[14:15], s[4:5]
	s_cbranch_execz .LBB1_35
; %bb.32:                               ;   in Loop: Header=BB1_30 Depth=1
	v_mov_b32_e32 v12, 0
	s_mov_b32 s22, 0
	s_mov_b64 s[16:17], 0
	v_mov_b32_e32 v13, 0
	s_mov_b64 s[18:19], 0
.LBB1_33:                               ;   Parent Loop BB1_30 Depth=1
                                        ; =>  This Inner Loop Header: Depth=2
	v_add_u32_e32 v3, s22, v48
	buffer_load_ubyte v3, v3, s[0:3], 0 offen
	v_mov_b32_e32 v17, s20
	s_add_i32 s22, s22, 1
	v_cmp_eq_u32_e64 s[4:5], s22, v49
	s_waitcnt vmcnt(0)
	v_and_b32_e32 v16, 0xffff, v3
	v_lshlrev_b64 v[16:17], s18, v[16:17]
	s_add_u32 s18, s18, 8
	s_addc_u32 s19, s19, 0
	v_or_b32_e32 v13, v17, v13
	s_or_b64 s[16:17], s[4:5], s[16:17]
	v_or_b32_e32 v12, v16, v12
	s_andn2_b64 exec, exec, s[16:17]
	s_cbranch_execnz .LBB1_33
; %bb.34:                               ;   in Loop: Header=BB1_30 Depth=1
	s_or_b64 exec, exec, s[16:17]
.LBB1_35:                               ;   in Loop: Header=BB1_30 Depth=1
	s_or_b64 exec, exec, s[14:15]
	v_mov_b32_e32 v16, v48
.LBB1_36:                               ;   in Loop: Header=BB1_30 Depth=1
	s_or_saveexec_b64 s[4:5], s[6:7]
	v_mov_b32_e32 v17, 0
	s_xor_b64 exec, exec, s[4:5]
	s_cbranch_execz .LBB1_38
; %bb.37:                               ;   in Loop: Header=BB1_30 Depth=1
	buffer_load_dword v12, v48, s[0:3], 0 offen
	buffer_load_dword v13, v48, s[0:3], 0 offen offset:4
	v_add_u32_e32 v17, -8, v49
.LBB1_38:                               ;   in Loop: Header=BB1_30 Depth=1
	s_or_b64 exec, exec, s[4:5]
	v_cmp_gt_u32_e64 s[4:5], 8, v17
	v_add_u32_e32 v3, 8, v16
                                        ; implicit-def: $vgpr20_vgpr21
	s_and_saveexec_b64 s[6:7], s[4:5]
	s_xor_b64 s[6:7], exec, s[6:7]
	s_cbranch_execz .LBB1_44
; %bb.39:                               ;   in Loop: Header=BB1_30 Depth=1
	v_mov_b32_e32 v20, 0
	v_mov_b32_e32 v21, 0
	v_cmp_ne_u32_e64 s[4:5], 0, v17
	s_and_saveexec_b64 s[14:15], s[4:5]
	s_cbranch_execz .LBB1_43
; %bb.40:                               ;   in Loop: Header=BB1_30 Depth=1
	v_mov_b32_e32 v20, 0
	s_mov_b32 s22, 0
	s_mov_b64 s[16:17], 0
	v_mov_b32_e32 v21, 0
	s_mov_b64 s[18:19], 0
.LBB1_41:                               ;   Parent Loop BB1_30 Depth=1
                                        ; =>  This Inner Loop Header: Depth=2
	v_add_u32_e32 v3, s22, v16
	buffer_load_ubyte v3, v3, s[0:3], 0 offen
	v_mov_b32_e32 v23, s20
	s_add_i32 s22, s22, 1
	v_cmp_eq_u32_e64 s[4:5], s22, v17
	s_waitcnt vmcnt(0)
	v_and_b32_e32 v22, 0xffff, v3
	v_lshlrev_b64 v[22:23], s18, v[22:23]
	s_add_u32 s18, s18, 8
	s_addc_u32 s19, s19, 0
	v_or_b32_e32 v21, v23, v21
	s_or_b64 s[16:17], s[4:5], s[16:17]
	v_or_b32_e32 v20, v22, v20
	s_andn2_b64 exec, exec, s[16:17]
	s_cbranch_execnz .LBB1_41
; %bb.42:                               ;   in Loop: Header=BB1_30 Depth=1
	s_or_b64 exec, exec, s[16:17]
.LBB1_43:                               ;   in Loop: Header=BB1_30 Depth=1
	s_or_b64 exec, exec, s[14:15]
	v_mov_b32_e32 v3, v16
                                        ; implicit-def: $vgpr17
.LBB1_44:                               ;   in Loop: Header=BB1_30 Depth=1
	s_or_saveexec_b64 s[4:5], s[6:7]
	v_mov_b32_e32 v24, 0
	s_xor_b64 exec, exec, s[4:5]
	s_cbranch_execz .LBB1_46
; %bb.45:                               ;   in Loop: Header=BB1_30 Depth=1
	buffer_load_dword v20, v16, s[0:3], 0 offen
	buffer_load_dword v21, v16, s[0:3], 0 offen offset:4
	v_add_u32_e32 v24, -8, v17
.LBB1_46:                               ;   in Loop: Header=BB1_30 Depth=1
	s_or_b64 exec, exec, s[4:5]
	v_cmp_gt_u32_e64 s[4:5], 8, v24
	v_add_u32_e32 v16, 8, v3
	s_and_saveexec_b64 s[6:7], s[4:5]
	s_xor_b64 s[6:7], exec, s[6:7]
	s_cbranch_execz .LBB1_52
; %bb.47:                               ;   in Loop: Header=BB1_30 Depth=1
	v_mov_b32_e32 v22, 0
	v_mov_b32_e32 v23, 0
	v_cmp_ne_u32_e64 s[4:5], 0, v24
	s_and_saveexec_b64 s[14:15], s[4:5]
	s_cbranch_execz .LBB1_51
; %bb.48:                               ;   in Loop: Header=BB1_30 Depth=1
	v_mov_b32_e32 v22, 0
	s_mov_b32 s22, 0
	s_mov_b64 s[16:17], 0
	v_mov_b32_e32 v23, 0
	s_mov_b64 s[18:19], 0
.LBB1_49:                               ;   Parent Loop BB1_30 Depth=1
                                        ; =>  This Inner Loop Header: Depth=2
	v_add_u32_e32 v16, s22, v3
	buffer_load_ubyte v16, v16, s[0:3], 0 offen
	v_mov_b32_e32 v17, s20
	s_add_i32 s22, s22, 1
	v_cmp_eq_u32_e64 s[4:5], s22, v24
	s_waitcnt vmcnt(0)
	v_and_b32_e32 v16, 0xffff, v16
	v_lshlrev_b64 v[16:17], s18, v[16:17]
	s_add_u32 s18, s18, 8
	s_addc_u32 s19, s19, 0
	v_or_b32_e32 v23, v17, v23
	s_or_b64 s[16:17], s[4:5], s[16:17]
	v_or_b32_e32 v22, v16, v22
	s_andn2_b64 exec, exec, s[16:17]
	s_cbranch_execnz .LBB1_49
; %bb.50:                               ;   in Loop: Header=BB1_30 Depth=1
	s_or_b64 exec, exec, s[16:17]
.LBB1_51:                               ;   in Loop: Header=BB1_30 Depth=1
	s_or_b64 exec, exec, s[14:15]
	v_mov_b32_e32 v16, v3
                                        ; implicit-def: $vgpr24
.LBB1_52:                               ;   in Loop: Header=BB1_30 Depth=1
	s_or_saveexec_b64 s[4:5], s[6:7]
	v_mov_b32_e32 v17, 0
	s_xor_b64 exec, exec, s[4:5]
	s_cbranch_execz .LBB1_54
; %bb.53:                               ;   in Loop: Header=BB1_30 Depth=1
	buffer_load_dword v22, v3, s[0:3], 0 offen
	buffer_load_dword v23, v3, s[0:3], 0 offen offset:4
	v_add_u32_e32 v17, -8, v24
.LBB1_54:                               ;   in Loop: Header=BB1_30 Depth=1
	s_or_b64 exec, exec, s[4:5]
	v_cmp_gt_u32_e64 s[4:5], 8, v17
	v_add_u32_e32 v3, 8, v16
                                        ; implicit-def: $vgpr24_vgpr25
	s_and_saveexec_b64 s[6:7], s[4:5]
	s_xor_b64 s[6:7], exec, s[6:7]
	s_cbranch_execz .LBB1_60
; %bb.55:                               ;   in Loop: Header=BB1_30 Depth=1
	v_mov_b32_e32 v24, 0
	v_mov_b32_e32 v25, 0
	v_cmp_ne_u32_e64 s[4:5], 0, v17
	s_and_saveexec_b64 s[14:15], s[4:5]
	s_cbranch_execz .LBB1_59
; %bb.56:                               ;   in Loop: Header=BB1_30 Depth=1
	v_mov_b32_e32 v24, 0
	s_mov_b32 s22, 0
	s_mov_b64 s[16:17], 0
	v_mov_b32_e32 v25, 0
	s_mov_b64 s[18:19], 0
.LBB1_57:                               ;   Parent Loop BB1_30 Depth=1
                                        ; =>  This Inner Loop Header: Depth=2
	v_add_u32_e32 v3, s22, v16
	buffer_load_ubyte v3, v3, s[0:3], 0 offen
	v_mov_b32_e32 v27, s20
	s_add_i32 s22, s22, 1
	v_cmp_eq_u32_e64 s[4:5], s22, v17
	s_waitcnt vmcnt(0)
	v_and_b32_e32 v26, 0xffff, v3
	v_lshlrev_b64 v[26:27], s18, v[26:27]
	s_add_u32 s18, s18, 8
	s_addc_u32 s19, s19, 0
	v_or_b32_e32 v25, v27, v25
	s_or_b64 s[16:17], s[4:5], s[16:17]
	v_or_b32_e32 v24, v26, v24
	s_andn2_b64 exec, exec, s[16:17]
	s_cbranch_execnz .LBB1_57
; %bb.58:                               ;   in Loop: Header=BB1_30 Depth=1
	s_or_b64 exec, exec, s[16:17]
.LBB1_59:                               ;   in Loop: Header=BB1_30 Depth=1
	s_or_b64 exec, exec, s[14:15]
	v_mov_b32_e32 v3, v16
                                        ; implicit-def: $vgpr17
.LBB1_60:                               ;   in Loop: Header=BB1_30 Depth=1
	s_or_saveexec_b64 s[4:5], s[6:7]
	v_mov_b32_e32 v28, 0
	s_xor_b64 exec, exec, s[4:5]
	s_cbranch_execz .LBB1_62
; %bb.61:                               ;   in Loop: Header=BB1_30 Depth=1
	buffer_load_dword v24, v16, s[0:3], 0 offen
	buffer_load_dword v25, v16, s[0:3], 0 offen offset:4
	v_add_u32_e32 v28, -8, v17
.LBB1_62:                               ;   in Loop: Header=BB1_30 Depth=1
	s_or_b64 exec, exec, s[4:5]
	v_cmp_gt_u32_e64 s[4:5], 8, v28
	v_add_u32_e32 v16, 8, v3
	s_and_saveexec_b64 s[6:7], s[4:5]
	s_xor_b64 s[6:7], exec, s[6:7]
	s_cbranch_execz .LBB1_68
; %bb.63:                               ;   in Loop: Header=BB1_30 Depth=1
	v_mov_b32_e32 v26, 0
	v_mov_b32_e32 v27, 0
	v_cmp_ne_u32_e64 s[4:5], 0, v28
	s_and_saveexec_b64 s[14:15], s[4:5]
	s_cbranch_execz .LBB1_67
; %bb.64:                               ;   in Loop: Header=BB1_30 Depth=1
	v_mov_b32_e32 v26, 0
	s_mov_b32 s22, 0
	s_mov_b64 s[16:17], 0
	v_mov_b32_e32 v27, 0
	s_mov_b64 s[18:19], 0
.LBB1_65:                               ;   Parent Loop BB1_30 Depth=1
                                        ; =>  This Inner Loop Header: Depth=2
	v_add_u32_e32 v16, s22, v3
	buffer_load_ubyte v16, v16, s[0:3], 0 offen
	v_mov_b32_e32 v17, s20
	s_add_i32 s22, s22, 1
	v_cmp_eq_u32_e64 s[4:5], s22, v28
	s_waitcnt vmcnt(0)
	v_and_b32_e32 v16, 0xffff, v16
	v_lshlrev_b64 v[16:17], s18, v[16:17]
	s_add_u32 s18, s18, 8
	s_addc_u32 s19, s19, 0
	v_or_b32_e32 v27, v17, v27
	s_or_b64 s[16:17], s[4:5], s[16:17]
	v_or_b32_e32 v26, v16, v26
	s_andn2_b64 exec, exec, s[16:17]
	s_cbranch_execnz .LBB1_65
; %bb.66:                               ;   in Loop: Header=BB1_30 Depth=1
	s_or_b64 exec, exec, s[16:17]
.LBB1_67:                               ;   in Loop: Header=BB1_30 Depth=1
	s_or_b64 exec, exec, s[14:15]
	v_mov_b32_e32 v16, v3
                                        ; implicit-def: $vgpr28
.LBB1_68:                               ;   in Loop: Header=BB1_30 Depth=1
	s_or_saveexec_b64 s[4:5], s[6:7]
	v_mov_b32_e32 v17, 0
	s_xor_b64 exec, exec, s[4:5]
	s_cbranch_execz .LBB1_70
; %bb.69:                               ;   in Loop: Header=BB1_30 Depth=1
	buffer_load_dword v26, v3, s[0:3], 0 offen
	buffer_load_dword v27, v3, s[0:3], 0 offen offset:4
	v_add_u32_e32 v17, -8, v28
.LBB1_70:                               ;   in Loop: Header=BB1_30 Depth=1
	s_or_b64 exec, exec, s[4:5]
	v_cmp_gt_u32_e64 s[4:5], 8, v17
	v_add_u32_e32 v3, 8, v16
                                        ; implicit-def: $vgpr28_vgpr29
	s_and_saveexec_b64 s[6:7], s[4:5]
	s_xor_b64 s[6:7], exec, s[6:7]
	s_cbranch_execz .LBB1_76
; %bb.71:                               ;   in Loop: Header=BB1_30 Depth=1
	v_mov_b32_e32 v28, 0
	v_mov_b32_e32 v29, 0
	v_cmp_ne_u32_e64 s[4:5], 0, v17
	s_and_saveexec_b64 s[14:15], s[4:5]
	s_cbranch_execz .LBB1_75
; %bb.72:                               ;   in Loop: Header=BB1_30 Depth=1
	v_mov_b32_e32 v28, 0
	s_mov_b32 s22, 0
	s_mov_b64 s[16:17], 0
	v_mov_b32_e32 v29, 0
	s_mov_b64 s[18:19], 0
.LBB1_73:                               ;   Parent Loop BB1_30 Depth=1
                                        ; =>  This Inner Loop Header: Depth=2
	v_add_u32_e32 v3, s22, v16
	buffer_load_ubyte v3, v3, s[0:3], 0 offen
	v_mov_b32_e32 v31, s20
	s_add_i32 s22, s22, 1
	v_cmp_eq_u32_e64 s[4:5], s22, v17
	s_waitcnt vmcnt(0)
	v_and_b32_e32 v30, 0xffff, v3
	v_lshlrev_b64 v[30:31], s18, v[30:31]
	s_add_u32 s18, s18, 8
	s_addc_u32 s19, s19, 0
	v_or_b32_e32 v29, v31, v29
	s_or_b64 s[16:17], s[4:5], s[16:17]
	v_or_b32_e32 v28, v30, v28
	s_andn2_b64 exec, exec, s[16:17]
	s_cbranch_execnz .LBB1_73
; %bb.74:                               ;   in Loop: Header=BB1_30 Depth=1
	s_or_b64 exec, exec, s[16:17]
.LBB1_75:                               ;   in Loop: Header=BB1_30 Depth=1
	s_or_b64 exec, exec, s[14:15]
	v_mov_b32_e32 v3, v16
                                        ; implicit-def: $vgpr17
.LBB1_76:                               ;   in Loop: Header=BB1_30 Depth=1
	s_or_saveexec_b64 s[4:5], s[6:7]
	v_mov_b32_e32 v32, 0
	s_xor_b64 exec, exec, s[4:5]
	s_cbranch_execz .LBB1_78
; %bb.77:                               ;   in Loop: Header=BB1_30 Depth=1
	buffer_load_dword v28, v16, s[0:3], 0 offen
	buffer_load_dword v29, v16, s[0:3], 0 offen offset:4
	v_add_u32_e32 v32, -8, v17
.LBB1_78:                               ;   in Loop: Header=BB1_30 Depth=1
	s_or_b64 exec, exec, s[4:5]
	v_cmp_gt_u32_e64 s[4:5], 8, v32
	s_and_saveexec_b64 s[6:7], s[4:5]
	s_xor_b64 s[6:7], exec, s[6:7]
	s_cbranch_execz .LBB1_84
; %bb.79:                               ;   in Loop: Header=BB1_30 Depth=1
	v_mov_b32_e32 v30, 0
	v_mov_b32_e32 v31, 0
	v_cmp_ne_u32_e64 s[4:5], 0, v32
	s_and_saveexec_b64 s[14:15], s[4:5]
	s_cbranch_execz .LBB1_83
; %bb.80:                               ;   in Loop: Header=BB1_30 Depth=1
	v_mov_b32_e32 v30, 0
	s_mov_b64 s[16:17], 0
	v_mov_b32_e32 v31, 0
	s_mov_b64 s[18:19], 0
.LBB1_81:                               ;   Parent Loop BB1_30 Depth=1
                                        ; =>  This Inner Loop Header: Depth=2
	buffer_load_ubyte v16, v3, s[0:3], 0 offen
	v_mov_b32_e32 v17, s20
	v_add_u32_e32 v32, -1, v32
	v_cmp_eq_u32_e64 s[4:5], 0, v32
	v_add_u32_e32 v3, 1, v3
	s_waitcnt vmcnt(0)
	v_and_b32_e32 v16, 0xffff, v16
	v_lshlrev_b64 v[16:17], s18, v[16:17]
	s_add_u32 s18, s18, 8
	s_addc_u32 s19, s19, 0
	v_or_b32_e32 v31, v17, v31
	s_or_b64 s[16:17], s[4:5], s[16:17]
	v_or_b32_e32 v30, v16, v30
	s_andn2_b64 exec, exec, s[16:17]
	s_cbranch_execnz .LBB1_81
; %bb.82:                               ;   in Loop: Header=BB1_30 Depth=1
	s_or_b64 exec, exec, s[16:17]
.LBB1_83:                               ;   in Loop: Header=BB1_30 Depth=1
	s_or_b64 exec, exec, s[14:15]
                                        ; implicit-def: $vgpr3
.LBB1_84:                               ;   in Loop: Header=BB1_30 Depth=1
	s_andn2_saveexec_b64 s[4:5], s[6:7]
	s_cbranch_execz .LBB1_86
; %bb.85:                               ;   in Loop: Header=BB1_30 Depth=1
	buffer_load_dword v30, v3, s[0:3], 0 offen
	buffer_load_dword v31, v3, s[0:3], 0 offen offset:4
.LBB1_86:                               ;   in Loop: Header=BB1_30 Depth=1
	s_or_b64 exec, exec, s[4:5]
	v_readfirstlane_b32 s4, v38
	v_mov_b32_e32 v16, 0
	v_mov_b32_e32 v17, 0
	v_cmp_eq_u32_e64 s[4:5], s4, v38
	s_and_saveexec_b64 s[14:15], s[4:5]
	s_cbranch_execz .LBB1_92
; %bb.87:                               ;   in Loop: Header=BB1_30 Depth=1
	global_load_dwordx2 v[34:35], v4, s[10:11] offset:24 glc
	s_waitcnt vmcnt(0)
	buffer_wbinvl1_vol
	global_load_dwordx2 v[16:17], v4, s[10:11] offset:40
	global_load_dwordx2 v[32:33], v4, s[10:11]
	s_waitcnt vmcnt(1)
	v_and_b32_e32 v3, v16, v34
	v_and_b32_e32 v16, v17, v35
	v_mul_lo_u32 v16, v16, 24
	v_mul_hi_u32 v17, v3, 24
	v_mul_lo_u32 v3, v3, 24
	v_add_u32_e32 v17, v17, v16
	s_waitcnt vmcnt(0)
	v_add_co_u32_e64 v16, s[6:7], v32, v3
	v_addc_co_u32_e64 v17, s[6:7], v33, v17, s[6:7]
	global_load_dwordx2 v[32:33], v[16:17], off glc
	s_waitcnt vmcnt(0)
	global_atomic_cmpswap_x2 v[16:17], v4, v[32:35], s[10:11] offset:24 glc
	s_waitcnt vmcnt(0)
	buffer_wbinvl1_vol
	v_cmp_ne_u64_e64 s[6:7], v[16:17], v[34:35]
	s_and_saveexec_b64 s[16:17], s[6:7]
	s_cbranch_execz .LBB1_91
; %bb.88:                               ;   in Loop: Header=BB1_30 Depth=1
	s_mov_b64 s[18:19], 0
.LBB1_89:                               ;   Parent Loop BB1_30 Depth=1
                                        ; =>  This Inner Loop Header: Depth=2
	s_sleep 1
	global_load_dwordx2 v[32:33], v4, s[10:11] offset:40
	global_load_dwordx2 v[36:37], v4, s[10:11]
	v_mov_b32_e32 v35, v17
	v_mov_b32_e32 v34, v16
	s_waitcnt vmcnt(1)
	v_and_b32_e32 v3, v32, v34
	s_waitcnt vmcnt(0)
	v_mad_u64_u32 v[16:17], s[6:7], v3, 24, v[36:37]
	v_and_b32_e32 v32, v33, v35
	v_mov_b32_e32 v3, v17
	v_mad_u64_u32 v[32:33], s[6:7], v32, 24, v[3:4]
	v_mov_b32_e32 v17, v32
	global_load_dwordx2 v[32:33], v[16:17], off glc
	s_waitcnt vmcnt(0)
	global_atomic_cmpswap_x2 v[16:17], v4, v[32:35], s[10:11] offset:24 glc
	s_waitcnt vmcnt(0)
	buffer_wbinvl1_vol
	v_cmp_eq_u64_e64 s[6:7], v[16:17], v[34:35]
	s_or_b64 s[18:19], s[6:7], s[18:19]
	s_andn2_b64 exec, exec, s[18:19]
	s_cbranch_execnz .LBB1_89
; %bb.90:                               ;   in Loop: Header=BB1_30 Depth=1
	s_or_b64 exec, exec, s[18:19]
.LBB1_91:                               ;   in Loop: Header=BB1_30 Depth=1
	s_or_b64 exec, exec, s[16:17]
.LBB1_92:                               ;   in Loop: Header=BB1_30 Depth=1
	s_or_b64 exec, exec, s[14:15]
	global_load_dwordx2 v[36:37], v4, s[10:11] offset:40
	global_load_dwordx4 v[32:35], v4, s[10:11]
	v_readfirstlane_b32 s15, v17
	v_readfirstlane_b32 s14, v16
	s_mov_b64 s[16:17], exec
	s_waitcnt vmcnt(1)
	v_readfirstlane_b32 s6, v36
	v_readfirstlane_b32 s7, v37
	s_and_b64 s[18:19], s[6:7], s[14:15]
	s_mul_i32 s6, s19, 24
	s_mul_hi_u32 s7, s18, 24
	s_mul_i32 s22, s18, 24
	s_add_i32 s6, s7, s6
	v_mov_b32_e32 v3, s6
	s_waitcnt vmcnt(0)
	v_add_co_u32_e64 v36, s[6:7], s22, v32
	v_addc_co_u32_e64 v37, s[6:7], v33, v3, s[6:7]
	s_and_saveexec_b64 s[6:7], s[4:5]
	s_cbranch_execz .LBB1_94
; %bb.93:                               ;   in Loop: Header=BB1_30 Depth=1
	v_mov_b32_e32 v16, s16
	v_mov_b32_e32 v17, s17
	global_store_dwordx4 v[36:37], v[16:19], off offset:8
.LBB1_94:                               ;   in Loop: Header=BB1_30 Depth=1
	s_or_b64 exec, exec, s[6:7]
	s_lshl_b64 s[6:7], s[18:19], 12
	v_cndmask_b32_e32 v50, 0, v1, vcc
	v_mov_b32_e32 v3, s7
	v_add_co_u32_e32 v34, vcc, s6, v34
	v_addc_co_u32_e32 v35, vcc, v35, v3, vcc
	v_cmp_gt_u64_e32 vcc, 57, v[0:1]
	v_and_b32_e32 v10, 0xffffff1f, v10
	v_cndmask_b32_e32 v3, 0, v5, vcc
	v_lshl_add_u32 v16, v49, 2, 28
	v_or_b32_e32 v3, v10, v3
	v_and_or_b32 v10, v16, s21, v3
	v_readfirstlane_b32 s6, v34
	v_readfirstlane_b32 s7, v35
	s_nop 4
	global_store_dwordx4 v39, v[10:13], s[6:7]
	global_store_dwordx4 v39, v[20:23], s[6:7] offset:16
	global_store_dwordx4 v39, v[24:27], s[6:7] offset:32
	;; [unrolled: 1-line block ×3, first 2 shown]
	s_and_saveexec_b64 s[6:7], s[4:5]
	s_cbranch_execz .LBB1_102
; %bb.95:                               ;   in Loop: Header=BB1_30 Depth=1
	global_load_dwordx2 v[22:23], v4, s[10:11] offset:32 glc
	global_load_dwordx2 v[10:11], v4, s[10:11] offset:40
	v_mov_b32_e32 v20, s14
	v_mov_b32_e32 v21, s15
	s_waitcnt vmcnt(0)
	v_readfirstlane_b32 s16, v10
	v_readfirstlane_b32 s17, v11
	s_and_b64 s[16:17], s[16:17], s[14:15]
	s_mul_i32 s17, s17, 24
	s_mul_hi_u32 s18, s16, 24
	s_mul_i32 s16, s16, 24
	s_add_i32 s17, s18, s17
	v_mov_b32_e32 v3, s17
	v_add_co_u32_e32 v16, vcc, s16, v32
	v_addc_co_u32_e32 v17, vcc, v33, v3, vcc
	global_store_dwordx2 v[16:17], v[22:23], off
	s_waitcnt vmcnt(0)
	global_atomic_cmpswap_x2 v[12:13], v4, v[20:23], s[10:11] offset:32 glc
	s_waitcnt vmcnt(0)
	v_cmp_ne_u64_e32 vcc, v[12:13], v[22:23]
	s_and_saveexec_b64 s[16:17], vcc
	s_cbranch_execz .LBB1_98
; %bb.96:                               ;   in Loop: Header=BB1_30 Depth=1
	s_mov_b64 s[18:19], 0
.LBB1_97:                               ;   Parent Loop BB1_30 Depth=1
                                        ; =>  This Inner Loop Header: Depth=2
	s_sleep 1
	global_store_dwordx2 v[16:17], v[12:13], off
	v_mov_b32_e32 v10, s14
	v_mov_b32_e32 v11, s15
	s_waitcnt vmcnt(0)
	global_atomic_cmpswap_x2 v[10:11], v4, v[10:13], s[10:11] offset:32 glc
	s_waitcnt vmcnt(0)
	v_cmp_eq_u64_e32 vcc, v[10:11], v[12:13]
	v_mov_b32_e32 v13, v11
	s_or_b64 s[18:19], vcc, s[18:19]
	v_mov_b32_e32 v12, v10
	s_andn2_b64 exec, exec, s[18:19]
	s_cbranch_execnz .LBB1_97
.LBB1_98:                               ;   in Loop: Header=BB1_30 Depth=1
	s_or_b64 exec, exec, s[16:17]
	global_load_dwordx2 v[10:11], v4, s[10:11] offset:16
	s_mov_b64 s[18:19], exec
	v_mbcnt_lo_u32_b32 v3, s18, 0
	v_mbcnt_hi_u32_b32 v3, s19, v3
	v_cmp_eq_u32_e32 vcc, 0, v3
	s_and_saveexec_b64 s[16:17], vcc
	s_cbranch_execz .LBB1_100
; %bb.99:                               ;   in Loop: Header=BB1_30 Depth=1
	s_bcnt1_i32_b64 s18, s[18:19]
	v_mov_b32_e32 v3, s18
	s_waitcnt vmcnt(0)
	global_atomic_add_x2 v[10:11], v[3:4], off offset:8
.LBB1_100:                              ;   in Loop: Header=BB1_30 Depth=1
	s_or_b64 exec, exec, s[16:17]
	s_waitcnt vmcnt(0)
	global_load_dwordx2 v[12:13], v[10:11], off offset:16
	s_waitcnt vmcnt(0)
	v_cmp_eq_u64_e32 vcc, 0, v[12:13]
	s_cbranch_vccnz .LBB1_102
; %bb.101:                              ;   in Loop: Header=BB1_30 Depth=1
	global_load_dword v3, v[10:11], off offset:24
	s_waitcnt vmcnt(0)
	v_readfirstlane_b32 s16, v3
	s_and_b32 m0, s16, 0xffffff
	global_store_dwordx2 v[12:13], v[3:4], off
	s_sendmsg sendmsg(MSG_INTERRUPT)
.LBB1_102:                              ;   in Loop: Header=BB1_30 Depth=1
	s_or_b64 exec, exec, s[6:7]
	v_add_co_u32_e32 v10, vcc, v34, v39
	v_addc_co_u32_e32 v11, vcc, 0, v35, vcc
	s_branch .LBB1_106
.LBB1_103:                              ;   in Loop: Header=BB1_106 Depth=2
	s_or_b64 exec, exec, s[6:7]
	v_readfirstlane_b32 s6, v3
	s_cmp_eq_u32 s6, 0
	s_cbranch_scc1 .LBB1_105
; %bb.104:                              ;   in Loop: Header=BB1_106 Depth=2
	s_sleep 1
	s_cbranch_execnz .LBB1_106
	s_branch .LBB1_108
.LBB1_105:                              ;   in Loop: Header=BB1_30 Depth=1
	s_branch .LBB1_108
.LBB1_106:                              ;   Parent Loop BB1_30 Depth=1
                                        ; =>  This Inner Loop Header: Depth=2
	v_mov_b32_e32 v3, 1
	s_and_saveexec_b64 s[6:7], s[4:5]
	s_cbranch_execz .LBB1_103
; %bb.107:                              ;   in Loop: Header=BB1_106 Depth=2
	global_load_dword v3, v[36:37], off offset:20 glc
	s_waitcnt vmcnt(0)
	buffer_wbinvl1_vol
	v_and_b32_e32 v3, 1, v3
	s_branch .LBB1_103
.LBB1_108:                              ;   in Loop: Header=BB1_30 Depth=1
	global_load_dwordx2 v[10:11], v[10:11], off
	s_and_saveexec_b64 s[6:7], s[4:5]
	s_cbranch_execz .LBB1_29
; %bb.109:                              ;   in Loop: Header=BB1_30 Depth=1
	global_load_dwordx2 v[12:13], v4, s[10:11] offset:40
	global_load_dwordx2 v[24:25], v4, s[10:11] offset:24 glc
	global_load_dwordx2 v[16:17], v4, s[10:11]
	s_waitcnt vmcnt(2)
	v_readfirstlane_b32 s16, v12
	v_readfirstlane_b32 s17, v13
	s_add_u32 s18, s16, 1
	s_addc_u32 s19, s17, 0
	s_add_u32 s4, s18, s14
	s_addc_u32 s5, s19, s15
	s_cmp_eq_u64 s[4:5], 0
	s_cselect_b32 s5, s19, s5
	s_cselect_b32 s4, s18, s4
	s_and_b64 s[14:15], s[4:5], s[16:17]
	s_mul_i32 s15, s15, 24
	s_mul_hi_u32 s16, s14, 24
	s_mul_i32 s14, s14, 24
	s_add_i32 s15, s16, s15
	v_mov_b32_e32 v3, s15
	s_waitcnt vmcnt(0)
	v_add_co_u32_e32 v12, vcc, s14, v16
	v_addc_co_u32_e32 v13, vcc, v17, v3, vcc
	v_mov_b32_e32 v22, s4
	global_store_dwordx2 v[12:13], v[24:25], off
	v_mov_b32_e32 v23, s5
	s_waitcnt vmcnt(0)
	global_atomic_cmpswap_x2 v[22:23], v4, v[22:25], s[10:11] offset:24 glc
	s_waitcnt vmcnt(0)
	v_cmp_ne_u64_e32 vcc, v[22:23], v[24:25]
	s_and_b64 exec, exec, vcc
	s_cbranch_execz .LBB1_29
; %bb.110:                              ;   in Loop: Header=BB1_30 Depth=1
	s_mov_b64 s[14:15], 0
.LBB1_111:                              ;   Parent Loop BB1_30 Depth=1
                                        ; =>  This Inner Loop Header: Depth=2
	s_sleep 1
	global_store_dwordx2 v[12:13], v[22:23], off
	v_mov_b32_e32 v20, s4
	v_mov_b32_e32 v21, s5
	s_waitcnt vmcnt(0)
	global_atomic_cmpswap_x2 v[16:17], v4, v[20:23], s[10:11] offset:24 glc
	s_waitcnt vmcnt(0)
	v_cmp_eq_u64_e32 vcc, v[16:17], v[22:23]
	v_mov_b32_e32 v23, v17
	s_or_b64 s[14:15], vcc, s[14:15]
	v_mov_b32_e32 v22, v16
	s_andn2_b64 exec, exec, s[14:15]
	s_cbranch_execnz .LBB1_111
	s_branch .LBB1_29
.LBB1_112:
                                        ; implicit-def: $vgpr10_vgpr11
	s_cbranch_execnz .LBB1_114
	s_branch .LBB1_140
.LBB1_113:
	s_or_b64 exec, exec, s[12:13]
	s_branch .LBB1_140
.LBB1_114:
	v_readfirstlane_b32 s4, v38
	v_mov_b32_e32 v0, 0
	v_mov_b32_e32 v1, 0
	v_cmp_eq_u32_e64 s[4:5], s4, v38
	s_and_saveexec_b64 s[6:7], s[4:5]
	s_cbranch_execz .LBB1_120
; %bb.115:
	v_mov_b32_e32 v3, 0
	global_load_dwordx2 v[12:13], v3, s[10:11] offset:24 glc
	s_waitcnt vmcnt(0)
	buffer_wbinvl1_vol
	global_load_dwordx2 v[0:1], v3, s[10:11] offset:40
	global_load_dwordx2 v[4:5], v3, s[10:11]
	s_waitcnt vmcnt(1)
	v_and_b32_e32 v0, v0, v12
	v_and_b32_e32 v1, v1, v13
	v_mul_lo_u32 v1, v1, 24
	v_mul_hi_u32 v10, v0, 24
	v_mul_lo_u32 v0, v0, 24
	v_add_u32_e32 v1, v10, v1
	s_waitcnt vmcnt(0)
	v_add_co_u32_e32 v0, vcc, v4, v0
	v_addc_co_u32_e32 v1, vcc, v5, v1, vcc
	global_load_dwordx2 v[10:11], v[0:1], off glc
	s_waitcnt vmcnt(0)
	global_atomic_cmpswap_x2 v[0:1], v3, v[10:13], s[10:11] offset:24 glc
	s_waitcnt vmcnt(0)
	buffer_wbinvl1_vol
	v_cmp_ne_u64_e32 vcc, v[0:1], v[12:13]
	s_and_saveexec_b64 s[12:13], vcc
	s_cbranch_execz .LBB1_119
; %bb.116:
	s_mov_b64 s[14:15], 0
.LBB1_117:                              ; =>This Inner Loop Header: Depth=1
	s_sleep 1
	global_load_dwordx2 v[4:5], v3, s[10:11] offset:40
	global_load_dwordx2 v[10:11], v3, s[10:11]
	v_mov_b32_e32 v13, v1
	v_mov_b32_e32 v12, v0
	s_waitcnt vmcnt(1)
	v_and_b32_e32 v0, v4, v12
	s_waitcnt vmcnt(0)
	v_mad_u64_u32 v[0:1], s[16:17], v0, 24, v[10:11]
	v_and_b32_e32 v4, v5, v13
	v_mad_u64_u32 v[4:5], s[16:17], v4, 24, v[1:2]
	v_mov_b32_e32 v1, v4
	global_load_dwordx2 v[10:11], v[0:1], off glc
	s_waitcnt vmcnt(0)
	global_atomic_cmpswap_x2 v[0:1], v3, v[10:13], s[10:11] offset:24 glc
	s_waitcnt vmcnt(0)
	buffer_wbinvl1_vol
	v_cmp_eq_u64_e32 vcc, v[0:1], v[12:13]
	s_or_b64 s[14:15], vcc, s[14:15]
	s_andn2_b64 exec, exec, s[14:15]
	s_cbranch_execnz .LBB1_117
; %bb.118:
	s_or_b64 exec, exec, s[14:15]
.LBB1_119:
	s_or_b64 exec, exec, s[12:13]
.LBB1_120:
	s_or_b64 exec, exec, s[6:7]
	v_mov_b32_e32 v16, 0
	global_load_dwordx2 v[3:4], v16, s[10:11] offset:40
	global_load_dwordx4 v[10:13], v16, s[10:11]
	v_readfirstlane_b32 s7, v1
	v_readfirstlane_b32 s6, v0
	s_mov_b64 s[12:13], exec
	s_waitcnt vmcnt(1)
	v_readfirstlane_b32 s14, v3
	v_readfirstlane_b32 s15, v4
	s_and_b64 s[14:15], s[14:15], s[6:7]
	s_mul_i32 s16, s15, 24
	s_mul_hi_u32 s17, s14, 24
	s_mul_i32 s18, s14, 24
	s_add_i32 s16, s17, s16
	v_mov_b32_e32 v1, s16
	s_waitcnt vmcnt(0)
	v_add_co_u32_e32 v0, vcc, s18, v10
	v_addc_co_u32_e32 v1, vcc, v11, v1, vcc
	s_and_saveexec_b64 s[16:17], s[4:5]
	s_cbranch_execz .LBB1_122
; %bb.121:
	v_mov_b32_e32 v18, s13
	v_mov_b32_e32 v17, s12
	;; [unrolled: 1-line block ×4, first 2 shown]
	global_store_dwordx4 v[0:1], v[17:20], off offset:8
.LBB1_122:
	s_or_b64 exec, exec, s[16:17]
	s_lshl_b64 s[12:13], s[14:15], 12
	v_mov_b32_e32 v3, s13
	v_add_co_u32_e32 v5, vcc, s12, v12
	v_addc_co_u32_e32 v12, vcc, v13, v3, vcc
	s_movk_i32 s12, 0xff1f
	v_and_or_b32 v14, v14, s12, 32
	v_add_co_u32_e32 v3, vcc, v5, v39
	s_mov_b32 s12, 0
	v_mov_b32_e32 v17, v16
	v_readfirstlane_b32 s16, v5
	v_readfirstlane_b32 s17, v12
	v_addc_co_u32_e32 v4, vcc, 0, v12, vcc
	s_mov_b32 s13, s12
	s_mov_b32 s14, s12
	;; [unrolled: 1-line block ×3, first 2 shown]
	s_nop 0
	global_store_dwordx4 v39, v[14:17], s[16:17]
	v_mov_b32_e32 v12, s12
	v_mov_b32_e32 v13, s13
	;; [unrolled: 1-line block ×4, first 2 shown]
	global_store_dwordx4 v39, v[12:15], s[16:17] offset:16
	global_store_dwordx4 v39, v[12:15], s[16:17] offset:32
	;; [unrolled: 1-line block ×3, first 2 shown]
	s_and_saveexec_b64 s[12:13], s[4:5]
	s_cbranch_execz .LBB1_130
; %bb.123:
	v_mov_b32_e32 v5, 0
	global_load_dwordx2 v[18:19], v5, s[10:11] offset:32 glc
	global_load_dwordx2 v[12:13], v5, s[10:11] offset:40
	v_mov_b32_e32 v16, s6
	v_mov_b32_e32 v17, s7
	s_waitcnt vmcnt(0)
	v_readfirstlane_b32 s14, v12
	v_readfirstlane_b32 s15, v13
	s_and_b64 s[14:15], s[14:15], s[6:7]
	s_mul_i32 s15, s15, 24
	s_mul_hi_u32 s16, s14, 24
	s_mul_i32 s14, s14, 24
	s_add_i32 s15, s16, s15
	v_mov_b32_e32 v12, s15
	v_add_co_u32_e32 v14, vcc, s14, v10
	v_addc_co_u32_e32 v15, vcc, v11, v12, vcc
	global_store_dwordx2 v[14:15], v[18:19], off
	s_waitcnt vmcnt(0)
	global_atomic_cmpswap_x2 v[12:13], v5, v[16:19], s[10:11] offset:32 glc
	s_waitcnt vmcnt(0)
	v_cmp_ne_u64_e32 vcc, v[12:13], v[18:19]
	s_and_saveexec_b64 s[14:15], vcc
	s_cbranch_execz .LBB1_126
; %bb.124:
	s_mov_b64 s[16:17], 0
.LBB1_125:                              ; =>This Inner Loop Header: Depth=1
	s_sleep 1
	global_store_dwordx2 v[14:15], v[12:13], off
	v_mov_b32_e32 v10, s6
	v_mov_b32_e32 v11, s7
	s_waitcnt vmcnt(0)
	global_atomic_cmpswap_x2 v[10:11], v5, v[10:13], s[10:11] offset:32 glc
	s_waitcnt vmcnt(0)
	v_cmp_eq_u64_e32 vcc, v[10:11], v[12:13]
	v_mov_b32_e32 v13, v11
	s_or_b64 s[16:17], vcc, s[16:17]
	v_mov_b32_e32 v12, v10
	s_andn2_b64 exec, exec, s[16:17]
	s_cbranch_execnz .LBB1_125
.LBB1_126:
	s_or_b64 exec, exec, s[14:15]
	v_mov_b32_e32 v13, 0
	global_load_dwordx2 v[10:11], v13, s[10:11] offset:16
	s_mov_b64 s[14:15], exec
	v_mbcnt_lo_u32_b32 v5, s14, 0
	v_mbcnt_hi_u32_b32 v5, s15, v5
	v_cmp_eq_u32_e32 vcc, 0, v5
	s_and_saveexec_b64 s[16:17], vcc
	s_cbranch_execz .LBB1_128
; %bb.127:
	s_bcnt1_i32_b64 s14, s[14:15]
	v_mov_b32_e32 v12, s14
	s_waitcnt vmcnt(0)
	global_atomic_add_x2 v[10:11], v[12:13], off offset:8
.LBB1_128:
	s_or_b64 exec, exec, s[16:17]
	s_waitcnt vmcnt(0)
	global_load_dwordx2 v[12:13], v[10:11], off offset:16
	s_waitcnt vmcnt(0)
	v_cmp_eq_u64_e32 vcc, 0, v[12:13]
	s_cbranch_vccnz .LBB1_130
; %bb.129:
	global_load_dword v10, v[10:11], off offset:24
	v_mov_b32_e32 v11, 0
	s_waitcnt vmcnt(0)
	v_readfirstlane_b32 s14, v10
	s_and_b32 m0, s14, 0xffffff
	global_store_dwordx2 v[12:13], v[10:11], off
	s_sendmsg sendmsg(MSG_INTERRUPT)
.LBB1_130:
	s_or_b64 exec, exec, s[12:13]
	s_branch .LBB1_134
.LBB1_131:                              ;   in Loop: Header=BB1_134 Depth=1
	s_or_b64 exec, exec, s[12:13]
	v_readfirstlane_b32 s12, v5
	s_cmp_eq_u32 s12, 0
	s_cbranch_scc1 .LBB1_133
; %bb.132:                              ;   in Loop: Header=BB1_134 Depth=1
	s_sleep 1
	s_cbranch_execnz .LBB1_134
	s_branch .LBB1_136
.LBB1_133:
	s_branch .LBB1_136
.LBB1_134:                              ; =>This Inner Loop Header: Depth=1
	v_mov_b32_e32 v5, 1
	s_and_saveexec_b64 s[12:13], s[4:5]
	s_cbranch_execz .LBB1_131
; %bb.135:                              ;   in Loop: Header=BB1_134 Depth=1
	global_load_dword v5, v[0:1], off offset:20 glc
	s_waitcnt vmcnt(0)
	buffer_wbinvl1_vol
	v_and_b32_e32 v5, 1, v5
	s_branch .LBB1_131
.LBB1_136:
	global_load_dwordx2 v[10:11], v[3:4], off
	s_and_saveexec_b64 s[12:13], s[4:5]
	s_cbranch_execz .LBB1_139
; %bb.137:
	v_mov_b32_e32 v3, 0
	global_load_dwordx2 v[0:1], v3, s[10:11] offset:40
	global_load_dwordx2 v[16:17], v3, s[10:11] offset:24 glc
	global_load_dwordx2 v[4:5], v3, s[10:11]
	s_waitcnt vmcnt(2)
	v_readfirstlane_b32 s14, v0
	v_readfirstlane_b32 s15, v1
	s_add_u32 s16, s14, 1
	s_addc_u32 s17, s15, 0
	s_add_u32 s4, s16, s6
	s_addc_u32 s5, s17, s7
	s_cmp_eq_u64 s[4:5], 0
	s_cselect_b32 s5, s17, s5
	s_cselect_b32 s4, s16, s4
	s_and_b64 s[6:7], s[4:5], s[14:15]
	s_mul_i32 s7, s7, 24
	s_mul_hi_u32 s14, s6, 24
	s_mul_i32 s6, s6, 24
	s_add_i32 s7, s14, s7
	v_mov_b32_e32 v1, s7
	s_waitcnt vmcnt(0)
	v_add_co_u32_e32 v0, vcc, s6, v4
	v_addc_co_u32_e32 v1, vcc, v5, v1, vcc
	v_mov_b32_e32 v14, s4
	global_store_dwordx2 v[0:1], v[16:17], off
	v_mov_b32_e32 v15, s5
	s_waitcnt vmcnt(0)
	global_atomic_cmpswap_x2 v[14:15], v3, v[14:17], s[10:11] offset:24 glc
	s_mov_b64 s[6:7], 0
	s_waitcnt vmcnt(0)
	v_cmp_ne_u64_e32 vcc, v[14:15], v[16:17]
	s_and_b64 exec, exec, vcc
	s_cbranch_execz .LBB1_139
.LBB1_138:                              ; =>This Inner Loop Header: Depth=1
	s_sleep 1
	global_store_dwordx2 v[0:1], v[14:15], off
	v_mov_b32_e32 v12, s4
	v_mov_b32_e32 v13, s5
	s_waitcnt vmcnt(0)
	global_atomic_cmpswap_x2 v[4:5], v3, v[12:15], s[10:11] offset:24 glc
	s_waitcnt vmcnt(0)
	v_cmp_eq_u64_e32 vcc, v[4:5], v[14:15]
	v_mov_b32_e32 v15, v5
	s_or_b64 s[6:7], vcc, s[6:7]
	v_mov_b32_e32 v14, v4
	s_andn2_b64 exec, exec, s[6:7]
	s_cbranch_execnz .LBB1_138
.LBB1_139:
	s_or_b64 exec, exec, s[12:13]
.LBB1_140:
	v_mov_b32_e32 v0, 0
	s_getpc_b64 s[4:5]
	s_add_u32 s4, s4, .str.1@rel32@lo+4
	s_addc_u32 s5, s5, .str.1@rel32@hi+12
.LBB1_141:                              ; =>This Inner Loop Header: Depth=1
	global_load_ubyte v1, v0, s[4:5]
	s_add_u32 s12, s4, 1
	s_addc_u32 s13, s5, 0
	s_mov_b64 s[4:5], s[12:13]
	s_waitcnt vmcnt(0)
	v_cmp_ne_u32_e32 vcc, 0, v1
	s_cbranch_vccnz .LBB1_141
; %bb.142:
	s_getpc_b64 s[6:7]
	s_add_u32 s6, s6, .str.1@rel32@lo+4
	s_addc_u32 s7, s7, .str.1@rel32@hi+12
	s_cmp_lg_u64 s[6:7], 0
	s_cbranch_scc0 .LBB1_227
; %bb.143:
	s_sub_i32 s12, s12, s6
	s_ashr_i32 s13, s12, 31
	v_and_b32_e32 v5, 2, v10
	v_mov_b32_e32 v1, 0
	v_and_b32_e32 v12, -3, v10
	v_mov_b32_e32 v13, v11
	v_mov_b32_e32 v18, 2
	v_mov_b32_e32 v19, 1
	s_branch .LBB1_145
.LBB1_144:                              ;   in Loop: Header=BB1_145 Depth=1
	s_or_b64 exec, exec, s[18:19]
	s_sub_u32 s12, s12, s14
	s_subb_u32 s13, s13, s15
	s_add_u32 s6, s6, s14
	s_addc_u32 s7, s7, s15
	s_cmp_lg_u64 s[12:13], 0
	s_cbranch_scc0 .LBB1_228
.LBB1_145:                              ; =>This Loop Header: Depth=1
                                        ;     Child Loop BB1_148 Depth 2
                                        ;     Child Loop BB1_156 Depth 2
	;; [unrolled: 1-line block ×11, first 2 shown]
	v_cmp_lt_u64_e64 s[4:5], s[12:13], 56
	v_cmp_gt_u64_e64 s[16:17], s[12:13], 7
	s_and_b64 s[4:5], s[4:5], exec
	s_cselect_b32 s15, s13, 0
	s_cselect_b32 s14, s12, 56
	s_add_u32 s4, s6, 8
	s_addc_u32 s5, s7, 0
	s_and_b64 vcc, exec, s[16:17]
	s_cbranch_vccnz .LBB1_149
; %bb.146:                              ;   in Loop: Header=BB1_145 Depth=1
	s_cmp_eq_u64 s[12:13], 0
	s_cbranch_scc1 .LBB1_150
; %bb.147:                              ;   in Loop: Header=BB1_145 Depth=1
	v_mov_b32_e32 v14, 0
	s_lshl_b64 s[4:5], s[14:15], 3
	s_mov_b64 s[16:17], 0
	v_mov_b32_e32 v15, 0
	s_mov_b64 s[18:19], s[6:7]
.LBB1_148:                              ;   Parent Loop BB1_145 Depth=1
                                        ; =>  This Inner Loop Header: Depth=2
	global_load_ubyte v0, v1, s[18:19]
	s_waitcnt vmcnt(0)
	v_and_b32_e32 v0, 0xffff, v0
	v_lshlrev_b64 v[3:4], s16, v[0:1]
	s_add_u32 s16, s16, 8
	s_addc_u32 s17, s17, 0
	s_add_u32 s18, s18, 1
	s_addc_u32 s19, s19, 0
	v_or_b32_e32 v14, v3, v14
	s_cmp_lg_u32 s4, s16
	v_or_b32_e32 v15, v4, v15
	s_cbranch_scc1 .LBB1_148
	s_branch .LBB1_151
.LBB1_149:                              ;   in Loop: Header=BB1_145 Depth=1
	s_mov_b32 s20, 0
	s_branch .LBB1_152
.LBB1_150:                              ;   in Loop: Header=BB1_145 Depth=1
	v_mov_b32_e32 v14, 0
	v_mov_b32_e32 v15, 0
.LBB1_151:                              ;   in Loop: Header=BB1_145 Depth=1
	s_mov_b64 s[4:5], s[6:7]
	s_mov_b32 s20, 0
	s_cbranch_execnz .LBB1_153
.LBB1_152:                              ;   in Loop: Header=BB1_145 Depth=1
	global_load_dwordx2 v[14:15], v1, s[6:7]
	s_add_i32 s20, s14, -8
.LBB1_153:                              ;   in Loop: Header=BB1_145 Depth=1
	s_add_u32 s16, s4, 8
	s_addc_u32 s17, s5, 0
	s_cmp_gt_u32 s20, 7
	s_cbranch_scc1 .LBB1_157
; %bb.154:                              ;   in Loop: Header=BB1_145 Depth=1
	s_cmp_eq_u32 s20, 0
	s_cbranch_scc1 .LBB1_158
; %bb.155:                              ;   in Loop: Header=BB1_145 Depth=1
	v_mov_b32_e32 v20, 0
	s_mov_b64 s[16:17], 0
	v_mov_b32_e32 v21, 0
	s_mov_b64 s[18:19], 0
.LBB1_156:                              ;   Parent Loop BB1_145 Depth=1
                                        ; =>  This Inner Loop Header: Depth=2
	s_add_u32 s22, s4, s18
	s_addc_u32 s23, s5, s19
	global_load_ubyte v0, v1, s[22:23]
	s_add_u32 s18, s18, 1
	s_addc_u32 s19, s19, 0
	s_waitcnt vmcnt(0)
	v_and_b32_e32 v0, 0xffff, v0
	v_lshlrev_b64 v[3:4], s16, v[0:1]
	s_add_u32 s16, s16, 8
	s_addc_u32 s17, s17, 0
	v_or_b32_e32 v20, v3, v20
	s_cmp_lg_u32 s20, s18
	v_or_b32_e32 v21, v4, v21
	s_cbranch_scc1 .LBB1_156
	s_branch .LBB1_159
.LBB1_157:                              ;   in Loop: Header=BB1_145 Depth=1
                                        ; implicit-def: $vgpr20_vgpr21
	s_mov_b32 s21, 0
	s_branch .LBB1_160
.LBB1_158:                              ;   in Loop: Header=BB1_145 Depth=1
	v_mov_b32_e32 v20, 0
	v_mov_b32_e32 v21, 0
.LBB1_159:                              ;   in Loop: Header=BB1_145 Depth=1
	s_mov_b64 s[16:17], s[4:5]
	s_mov_b32 s21, 0
	s_cbranch_execnz .LBB1_161
.LBB1_160:                              ;   in Loop: Header=BB1_145 Depth=1
	global_load_dwordx2 v[20:21], v1, s[4:5]
	s_add_i32 s21, s20, -8
.LBB1_161:                              ;   in Loop: Header=BB1_145 Depth=1
	s_add_u32 s4, s16, 8
	s_addc_u32 s5, s17, 0
	s_cmp_gt_u32 s21, 7
	s_cbranch_scc1 .LBB1_165
; %bb.162:                              ;   in Loop: Header=BB1_145 Depth=1
	s_cmp_eq_u32 s21, 0
	s_cbranch_scc1 .LBB1_166
; %bb.163:                              ;   in Loop: Header=BB1_145 Depth=1
	v_mov_b32_e32 v22, 0
	s_mov_b64 s[4:5], 0
	v_mov_b32_e32 v23, 0
	s_mov_b64 s[18:19], 0
.LBB1_164:                              ;   Parent Loop BB1_145 Depth=1
                                        ; =>  This Inner Loop Header: Depth=2
	s_add_u32 s22, s16, s18
	s_addc_u32 s23, s17, s19
	global_load_ubyte v0, v1, s[22:23]
	s_add_u32 s18, s18, 1
	s_addc_u32 s19, s19, 0
	s_waitcnt vmcnt(0)
	v_and_b32_e32 v0, 0xffff, v0
	v_lshlrev_b64 v[3:4], s4, v[0:1]
	s_add_u32 s4, s4, 8
	s_addc_u32 s5, s5, 0
	v_or_b32_e32 v22, v3, v22
	s_cmp_lg_u32 s21, s18
	v_or_b32_e32 v23, v4, v23
	s_cbranch_scc1 .LBB1_164
	s_branch .LBB1_167
.LBB1_165:                              ;   in Loop: Header=BB1_145 Depth=1
	s_mov_b32 s20, 0
	s_branch .LBB1_168
.LBB1_166:                              ;   in Loop: Header=BB1_145 Depth=1
	v_mov_b32_e32 v22, 0
	v_mov_b32_e32 v23, 0
.LBB1_167:                              ;   in Loop: Header=BB1_145 Depth=1
	s_mov_b64 s[4:5], s[16:17]
	s_mov_b32 s20, 0
	s_cbranch_execnz .LBB1_169
.LBB1_168:                              ;   in Loop: Header=BB1_145 Depth=1
	global_load_dwordx2 v[22:23], v1, s[16:17]
	s_add_i32 s20, s21, -8
.LBB1_169:                              ;   in Loop: Header=BB1_145 Depth=1
	s_add_u32 s16, s4, 8
	s_addc_u32 s17, s5, 0
	s_cmp_gt_u32 s20, 7
	s_cbranch_scc1 .LBB1_173
; %bb.170:                              ;   in Loop: Header=BB1_145 Depth=1
	s_cmp_eq_u32 s20, 0
	s_cbranch_scc1 .LBB1_174
; %bb.171:                              ;   in Loop: Header=BB1_145 Depth=1
	v_mov_b32_e32 v24, 0
	s_mov_b64 s[16:17], 0
	v_mov_b32_e32 v25, 0
	s_mov_b64 s[18:19], 0
.LBB1_172:                              ;   Parent Loop BB1_145 Depth=1
                                        ; =>  This Inner Loop Header: Depth=2
	s_add_u32 s22, s4, s18
	s_addc_u32 s23, s5, s19
	global_load_ubyte v0, v1, s[22:23]
	s_add_u32 s18, s18, 1
	s_addc_u32 s19, s19, 0
	s_waitcnt vmcnt(0)
	v_and_b32_e32 v0, 0xffff, v0
	v_lshlrev_b64 v[3:4], s16, v[0:1]
	s_add_u32 s16, s16, 8
	s_addc_u32 s17, s17, 0
	v_or_b32_e32 v24, v3, v24
	s_cmp_lg_u32 s20, s18
	v_or_b32_e32 v25, v4, v25
	s_cbranch_scc1 .LBB1_172
	s_branch .LBB1_175
.LBB1_173:                              ;   in Loop: Header=BB1_145 Depth=1
                                        ; implicit-def: $vgpr24_vgpr25
	s_mov_b32 s21, 0
	s_branch .LBB1_176
.LBB1_174:                              ;   in Loop: Header=BB1_145 Depth=1
	v_mov_b32_e32 v24, 0
	v_mov_b32_e32 v25, 0
.LBB1_175:                              ;   in Loop: Header=BB1_145 Depth=1
	s_mov_b64 s[16:17], s[4:5]
	s_mov_b32 s21, 0
	s_cbranch_execnz .LBB1_177
.LBB1_176:                              ;   in Loop: Header=BB1_145 Depth=1
	global_load_dwordx2 v[24:25], v1, s[4:5]
	s_add_i32 s21, s20, -8
.LBB1_177:                              ;   in Loop: Header=BB1_145 Depth=1
	s_add_u32 s4, s16, 8
	s_addc_u32 s5, s17, 0
	s_cmp_gt_u32 s21, 7
	s_cbranch_scc1 .LBB1_181
; %bb.178:                              ;   in Loop: Header=BB1_145 Depth=1
	s_cmp_eq_u32 s21, 0
	s_cbranch_scc1 .LBB1_182
; %bb.179:                              ;   in Loop: Header=BB1_145 Depth=1
	v_mov_b32_e32 v26, 0
	s_mov_b64 s[4:5], 0
	v_mov_b32_e32 v27, 0
	s_mov_b64 s[18:19], 0
.LBB1_180:                              ;   Parent Loop BB1_145 Depth=1
                                        ; =>  This Inner Loop Header: Depth=2
	s_add_u32 s22, s16, s18
	s_addc_u32 s23, s17, s19
	global_load_ubyte v0, v1, s[22:23]
	s_add_u32 s18, s18, 1
	s_addc_u32 s19, s19, 0
	s_waitcnt vmcnt(0)
	v_and_b32_e32 v0, 0xffff, v0
	v_lshlrev_b64 v[3:4], s4, v[0:1]
	s_add_u32 s4, s4, 8
	s_addc_u32 s5, s5, 0
	v_or_b32_e32 v26, v3, v26
	s_cmp_lg_u32 s21, s18
	v_or_b32_e32 v27, v4, v27
	s_cbranch_scc1 .LBB1_180
	s_branch .LBB1_183
.LBB1_181:                              ;   in Loop: Header=BB1_145 Depth=1
	s_mov_b32 s20, 0
	s_branch .LBB1_184
.LBB1_182:                              ;   in Loop: Header=BB1_145 Depth=1
	v_mov_b32_e32 v26, 0
	v_mov_b32_e32 v27, 0
.LBB1_183:                              ;   in Loop: Header=BB1_145 Depth=1
	s_mov_b64 s[4:5], s[16:17]
	s_mov_b32 s20, 0
	s_cbranch_execnz .LBB1_185
.LBB1_184:                              ;   in Loop: Header=BB1_145 Depth=1
	global_load_dwordx2 v[26:27], v1, s[16:17]
	s_add_i32 s20, s21, -8
.LBB1_185:                              ;   in Loop: Header=BB1_145 Depth=1
	s_add_u32 s16, s4, 8
	s_addc_u32 s17, s5, 0
	s_cmp_gt_u32 s20, 7
	s_cbranch_scc1 .LBB1_189
; %bb.186:                              ;   in Loop: Header=BB1_145 Depth=1
	s_cmp_eq_u32 s20, 0
	s_cbranch_scc1 .LBB1_190
; %bb.187:                              ;   in Loop: Header=BB1_145 Depth=1
	v_mov_b32_e32 v28, 0
	s_mov_b64 s[16:17], 0
	v_mov_b32_e32 v29, 0
	s_mov_b64 s[18:19], 0
.LBB1_188:                              ;   Parent Loop BB1_145 Depth=1
                                        ; =>  This Inner Loop Header: Depth=2
	s_add_u32 s22, s4, s18
	s_addc_u32 s23, s5, s19
	global_load_ubyte v0, v1, s[22:23]
	s_add_u32 s18, s18, 1
	s_addc_u32 s19, s19, 0
	s_waitcnt vmcnt(0)
	v_and_b32_e32 v0, 0xffff, v0
	v_lshlrev_b64 v[3:4], s16, v[0:1]
	s_add_u32 s16, s16, 8
	s_addc_u32 s17, s17, 0
	v_or_b32_e32 v28, v3, v28
	s_cmp_lg_u32 s20, s18
	v_or_b32_e32 v29, v4, v29
	s_cbranch_scc1 .LBB1_188
	s_branch .LBB1_191
.LBB1_189:                              ;   in Loop: Header=BB1_145 Depth=1
                                        ; implicit-def: $vgpr28_vgpr29
	s_mov_b32 s21, 0
	s_branch .LBB1_192
.LBB1_190:                              ;   in Loop: Header=BB1_145 Depth=1
	v_mov_b32_e32 v28, 0
	v_mov_b32_e32 v29, 0
.LBB1_191:                              ;   in Loop: Header=BB1_145 Depth=1
	s_mov_b64 s[16:17], s[4:5]
	s_mov_b32 s21, 0
	s_cbranch_execnz .LBB1_193
.LBB1_192:                              ;   in Loop: Header=BB1_145 Depth=1
	global_load_dwordx2 v[28:29], v1, s[4:5]
	s_add_i32 s21, s20, -8
.LBB1_193:                              ;   in Loop: Header=BB1_145 Depth=1
	s_cmp_gt_u32 s21, 7
	s_cbranch_scc1 .LBB1_197
; %bb.194:                              ;   in Loop: Header=BB1_145 Depth=1
	s_cmp_eq_u32 s21, 0
	s_cbranch_scc1 .LBB1_198
; %bb.195:                              ;   in Loop: Header=BB1_145 Depth=1
	v_mov_b32_e32 v30, 0
	s_mov_b64 s[4:5], 0
	v_mov_b32_e32 v31, 0
	s_mov_b64 s[18:19], s[16:17]
.LBB1_196:                              ;   Parent Loop BB1_145 Depth=1
                                        ; =>  This Inner Loop Header: Depth=2
	global_load_ubyte v0, v1, s[18:19]
	s_add_i32 s21, s21, -1
	s_waitcnt vmcnt(0)
	v_and_b32_e32 v0, 0xffff, v0
	v_lshlrev_b64 v[3:4], s4, v[0:1]
	s_add_u32 s4, s4, 8
	s_addc_u32 s5, s5, 0
	s_add_u32 s18, s18, 1
	s_addc_u32 s19, s19, 0
	v_or_b32_e32 v30, v3, v30
	s_cmp_lg_u32 s21, 0
	v_or_b32_e32 v31, v4, v31
	s_cbranch_scc1 .LBB1_196
	s_branch .LBB1_199
.LBB1_197:                              ;   in Loop: Header=BB1_145 Depth=1
	s_branch .LBB1_200
.LBB1_198:                              ;   in Loop: Header=BB1_145 Depth=1
	v_mov_b32_e32 v30, 0
	v_mov_b32_e32 v31, 0
.LBB1_199:                              ;   in Loop: Header=BB1_145 Depth=1
	s_cbranch_execnz .LBB1_201
.LBB1_200:                              ;   in Loop: Header=BB1_145 Depth=1
	global_load_dwordx2 v[30:31], v1, s[16:17]
.LBB1_201:                              ;   in Loop: Header=BB1_145 Depth=1
	v_readfirstlane_b32 s4, v38
	v_mov_b32_e32 v3, 0
	v_mov_b32_e32 v4, 0
	v_cmp_eq_u32_e64 s[4:5], s4, v38
	s_and_saveexec_b64 s[16:17], s[4:5]
	s_cbranch_execz .LBB1_207
; %bb.202:                              ;   in Loop: Header=BB1_145 Depth=1
	global_load_dwordx2 v[34:35], v1, s[10:11] offset:24 glc
	s_waitcnt vmcnt(0)
	buffer_wbinvl1_vol
	global_load_dwordx2 v[3:4], v1, s[10:11] offset:40
	global_load_dwordx2 v[16:17], v1, s[10:11]
	s_waitcnt vmcnt(1)
	v_and_b32_e32 v0, v3, v34
	v_and_b32_e32 v3, v4, v35
	v_mul_lo_u32 v3, v3, 24
	v_mul_hi_u32 v4, v0, 24
	v_mul_lo_u32 v0, v0, 24
	v_add_u32_e32 v4, v4, v3
	s_waitcnt vmcnt(0)
	v_add_co_u32_e32 v3, vcc, v16, v0
	v_addc_co_u32_e32 v4, vcc, v17, v4, vcc
	global_load_dwordx2 v[32:33], v[3:4], off glc
	s_waitcnt vmcnt(0)
	global_atomic_cmpswap_x2 v[3:4], v1, v[32:35], s[10:11] offset:24 glc
	s_waitcnt vmcnt(0)
	buffer_wbinvl1_vol
	v_cmp_ne_u64_e32 vcc, v[3:4], v[34:35]
	s_and_saveexec_b64 s[18:19], vcc
	s_cbranch_execz .LBB1_206
; %bb.203:                              ;   in Loop: Header=BB1_145 Depth=1
	s_mov_b64 s[20:21], 0
.LBB1_204:                              ;   Parent Loop BB1_145 Depth=1
                                        ; =>  This Inner Loop Header: Depth=2
	s_sleep 1
	global_load_dwordx2 v[16:17], v1, s[10:11] offset:40
	global_load_dwordx2 v[32:33], v1, s[10:11]
	v_mov_b32_e32 v35, v4
	v_mov_b32_e32 v34, v3
	s_waitcnt vmcnt(1)
	v_and_b32_e32 v0, v16, v34
	s_waitcnt vmcnt(0)
	v_mad_u64_u32 v[3:4], s[22:23], v0, 24, v[32:33]
	v_and_b32_e32 v16, v17, v35
	v_mov_b32_e32 v0, v4
	v_mad_u64_u32 v[16:17], s[22:23], v16, 24, v[0:1]
	v_mov_b32_e32 v4, v16
	global_load_dwordx2 v[32:33], v[3:4], off glc
	s_waitcnt vmcnt(0)
	global_atomic_cmpswap_x2 v[3:4], v1, v[32:35], s[10:11] offset:24 glc
	s_waitcnt vmcnt(0)
	buffer_wbinvl1_vol
	v_cmp_eq_u64_e32 vcc, v[3:4], v[34:35]
	s_or_b64 s[20:21], vcc, s[20:21]
	s_andn2_b64 exec, exec, s[20:21]
	s_cbranch_execnz .LBB1_204
; %bb.205:                              ;   in Loop: Header=BB1_145 Depth=1
	s_or_b64 exec, exec, s[20:21]
.LBB1_206:                              ;   in Loop: Header=BB1_145 Depth=1
	s_or_b64 exec, exec, s[18:19]
.LBB1_207:                              ;   in Loop: Header=BB1_145 Depth=1
	s_or_b64 exec, exec, s[16:17]
	global_load_dwordx2 v[16:17], v1, s[10:11] offset:40
	global_load_dwordx4 v[32:35], v1, s[10:11]
	v_readfirstlane_b32 s17, v4
	v_readfirstlane_b32 s16, v3
	s_mov_b64 s[18:19], exec
	s_waitcnt vmcnt(1)
	v_readfirstlane_b32 s20, v16
	v_readfirstlane_b32 s21, v17
	s_and_b64 s[20:21], s[20:21], s[16:17]
	s_mul_i32 s22, s21, 24
	s_mul_hi_u32 s23, s20, 24
	s_mul_i32 s24, s20, 24
	s_add_i32 s22, s23, s22
	v_mov_b32_e32 v0, s22
	s_waitcnt vmcnt(0)
	v_add_co_u32_e32 v3, vcc, s24, v32
	v_addc_co_u32_e32 v4, vcc, v33, v0, vcc
	s_and_saveexec_b64 s[22:23], s[4:5]
	s_cbranch_execz .LBB1_209
; %bb.208:                              ;   in Loop: Header=BB1_145 Depth=1
	v_mov_b32_e32 v16, s18
	v_mov_b32_e32 v17, s19
	global_store_dwordx4 v[3:4], v[16:19], off offset:8
.LBB1_209:                              ;   in Loop: Header=BB1_145 Depth=1
	s_or_b64 exec, exec, s[22:23]
	s_lshl_b64 s[18:19], s[20:21], 12
	v_mov_b32_e32 v0, s19
	v_add_co_u32_e32 v34, vcc, s18, v34
	v_addc_co_u32_e32 v35, vcc, v35, v0, vcc
	v_cmp_lt_u64_e64 vcc, s[12:13], 57
	s_lshl_b32 s18, s14, 2
	v_cndmask_b32_e32 v0, 0, v5, vcc
	s_add_i32 s18, s18, 28
	v_and_b32_e32 v12, 0xffffff1f, v12
	s_and_b32 s18, s18, 0x1e0
	v_or_b32_e32 v0, v12, v0
	v_or_b32_e32 v12, s18, v0
	v_readfirstlane_b32 s18, v34
	v_readfirstlane_b32 s19, v35
	s_nop 4
	global_store_dwordx4 v39, v[12:15], s[18:19]
	global_store_dwordx4 v39, v[20:23], s[18:19] offset:16
	global_store_dwordx4 v39, v[24:27], s[18:19] offset:32
	;; [unrolled: 1-line block ×3, first 2 shown]
	s_and_saveexec_b64 s[18:19], s[4:5]
	s_cbranch_execz .LBB1_217
; %bb.210:                              ;   in Loop: Header=BB1_145 Depth=1
	global_load_dwordx2 v[22:23], v1, s[10:11] offset:32 glc
	global_load_dwordx2 v[12:13], v1, s[10:11] offset:40
	v_mov_b32_e32 v20, s16
	v_mov_b32_e32 v21, s17
	s_waitcnt vmcnt(0)
	v_readfirstlane_b32 s20, v12
	v_readfirstlane_b32 s21, v13
	s_and_b64 s[20:21], s[20:21], s[16:17]
	s_mul_i32 s21, s21, 24
	s_mul_hi_u32 s22, s20, 24
	s_mul_i32 s20, s20, 24
	s_add_i32 s21, s22, s21
	v_mov_b32_e32 v0, s21
	v_add_co_u32_e32 v16, vcc, s20, v32
	v_addc_co_u32_e32 v17, vcc, v33, v0, vcc
	global_store_dwordx2 v[16:17], v[22:23], off
	s_waitcnt vmcnt(0)
	global_atomic_cmpswap_x2 v[14:15], v1, v[20:23], s[10:11] offset:32 glc
	s_waitcnt vmcnt(0)
	v_cmp_ne_u64_e32 vcc, v[14:15], v[22:23]
	s_and_saveexec_b64 s[20:21], vcc
	s_cbranch_execz .LBB1_213
; %bb.211:                              ;   in Loop: Header=BB1_145 Depth=1
	s_mov_b64 s[22:23], 0
.LBB1_212:                              ;   Parent Loop BB1_145 Depth=1
                                        ; =>  This Inner Loop Header: Depth=2
	s_sleep 1
	global_store_dwordx2 v[16:17], v[14:15], off
	v_mov_b32_e32 v12, s16
	v_mov_b32_e32 v13, s17
	s_waitcnt vmcnt(0)
	global_atomic_cmpswap_x2 v[12:13], v1, v[12:15], s[10:11] offset:32 glc
	s_waitcnt vmcnt(0)
	v_cmp_eq_u64_e32 vcc, v[12:13], v[14:15]
	v_mov_b32_e32 v15, v13
	s_or_b64 s[22:23], vcc, s[22:23]
	v_mov_b32_e32 v14, v12
	s_andn2_b64 exec, exec, s[22:23]
	s_cbranch_execnz .LBB1_212
.LBB1_213:                              ;   in Loop: Header=BB1_145 Depth=1
	s_or_b64 exec, exec, s[20:21]
	global_load_dwordx2 v[12:13], v1, s[10:11] offset:16
	s_mov_b64 s[22:23], exec
	v_mbcnt_lo_u32_b32 v0, s22, 0
	v_mbcnt_hi_u32_b32 v0, s23, v0
	v_cmp_eq_u32_e32 vcc, 0, v0
	s_and_saveexec_b64 s[20:21], vcc
	s_cbranch_execz .LBB1_215
; %bb.214:                              ;   in Loop: Header=BB1_145 Depth=1
	s_bcnt1_i32_b64 s22, s[22:23]
	v_mov_b32_e32 v0, s22
	s_waitcnt vmcnt(0)
	global_atomic_add_x2 v[12:13], v[0:1], off offset:8
.LBB1_215:                              ;   in Loop: Header=BB1_145 Depth=1
	s_or_b64 exec, exec, s[20:21]
	s_waitcnt vmcnt(0)
	global_load_dwordx2 v[14:15], v[12:13], off offset:16
	s_waitcnt vmcnt(0)
	v_cmp_eq_u64_e32 vcc, 0, v[14:15]
	s_cbranch_vccnz .LBB1_217
; %bb.216:                              ;   in Loop: Header=BB1_145 Depth=1
	global_load_dword v0, v[12:13], off offset:24
	s_waitcnt vmcnt(0)
	v_readfirstlane_b32 s20, v0
	s_and_b32 m0, s20, 0xffffff
	global_store_dwordx2 v[14:15], v[0:1], off
	s_sendmsg sendmsg(MSG_INTERRUPT)
.LBB1_217:                              ;   in Loop: Header=BB1_145 Depth=1
	s_or_b64 exec, exec, s[18:19]
	v_add_co_u32_e32 v12, vcc, v34, v39
	v_addc_co_u32_e32 v13, vcc, 0, v35, vcc
	s_branch .LBB1_221
.LBB1_218:                              ;   in Loop: Header=BB1_221 Depth=2
	s_or_b64 exec, exec, s[18:19]
	v_readfirstlane_b32 s18, v0
	s_cmp_eq_u32 s18, 0
	s_cbranch_scc1 .LBB1_220
; %bb.219:                              ;   in Loop: Header=BB1_221 Depth=2
	s_sleep 1
	s_cbranch_execnz .LBB1_221
	s_branch .LBB1_223
.LBB1_220:                              ;   in Loop: Header=BB1_145 Depth=1
	s_branch .LBB1_223
.LBB1_221:                              ;   Parent Loop BB1_145 Depth=1
                                        ; =>  This Inner Loop Header: Depth=2
	v_mov_b32_e32 v0, 1
	s_and_saveexec_b64 s[18:19], s[4:5]
	s_cbranch_execz .LBB1_218
; %bb.222:                              ;   in Loop: Header=BB1_221 Depth=2
	global_load_dword v0, v[3:4], off offset:20 glc
	s_waitcnt vmcnt(0)
	buffer_wbinvl1_vol
	v_and_b32_e32 v0, 1, v0
	s_branch .LBB1_218
.LBB1_223:                              ;   in Loop: Header=BB1_145 Depth=1
	global_load_dwordx2 v[12:13], v[12:13], off
	s_and_saveexec_b64 s[18:19], s[4:5]
	s_cbranch_execz .LBB1_144
; %bb.224:                              ;   in Loop: Header=BB1_145 Depth=1
	global_load_dwordx2 v[3:4], v1, s[10:11] offset:40
	global_load_dwordx2 v[22:23], v1, s[10:11] offset:24 glc
	global_load_dwordx2 v[14:15], v1, s[10:11]
	s_waitcnt vmcnt(2)
	v_readfirstlane_b32 s20, v3
	v_readfirstlane_b32 s21, v4
	s_add_u32 s22, s20, 1
	s_addc_u32 s23, s21, 0
	s_add_u32 s4, s22, s16
	s_addc_u32 s5, s23, s17
	s_cmp_eq_u64 s[4:5], 0
	s_cselect_b32 s5, s23, s5
	s_cselect_b32 s4, s22, s4
	s_and_b64 s[16:17], s[4:5], s[20:21]
	s_mul_i32 s17, s17, 24
	s_mul_hi_u32 s20, s16, 24
	s_mul_i32 s16, s16, 24
	s_add_i32 s17, s20, s17
	v_mov_b32_e32 v0, s17
	s_waitcnt vmcnt(0)
	v_add_co_u32_e32 v3, vcc, s16, v14
	v_addc_co_u32_e32 v4, vcc, v15, v0, vcc
	v_mov_b32_e32 v20, s4
	global_store_dwordx2 v[3:4], v[22:23], off
	v_mov_b32_e32 v21, s5
	s_waitcnt vmcnt(0)
	global_atomic_cmpswap_x2 v[16:17], v1, v[20:23], s[10:11] offset:24 glc
	s_waitcnt vmcnt(0)
	v_cmp_ne_u64_e32 vcc, v[16:17], v[22:23]
	s_and_b64 exec, exec, vcc
	s_cbranch_execz .LBB1_144
; %bb.225:                              ;   in Loop: Header=BB1_145 Depth=1
	s_mov_b64 s[16:17], 0
.LBB1_226:                              ;   Parent Loop BB1_145 Depth=1
                                        ; =>  This Inner Loop Header: Depth=2
	s_sleep 1
	global_store_dwordx2 v[3:4], v[16:17], off
	v_mov_b32_e32 v14, s4
	v_mov_b32_e32 v15, s5
	s_waitcnt vmcnt(0)
	global_atomic_cmpswap_x2 v[14:15], v1, v[14:17], s[10:11] offset:24 glc
	s_waitcnt vmcnt(0)
	v_cmp_eq_u64_e32 vcc, v[14:15], v[16:17]
	v_mov_b32_e32 v17, v15
	s_or_b64 s[16:17], vcc, s[16:17]
	v_mov_b32_e32 v16, v14
	s_andn2_b64 exec, exec, s[16:17]
	s_cbranch_execnz .LBB1_226
	s_branch .LBB1_144
.LBB1_227:
                                        ; implicit-def: $vgpr12_vgpr13
	s_cbranch_execnz .LBB1_229
	s_branch .LBB1_255
.LBB1_228:
	s_branch .LBB1_255
.LBB1_229:
	v_readfirstlane_b32 s4, v38
	v_mov_b32_e32 v0, 0
	v_mov_b32_e32 v1, 0
	v_cmp_eq_u32_e64 s[4:5], s4, v38
	s_and_saveexec_b64 s[6:7], s[4:5]
	s_cbranch_execz .LBB1_235
; %bb.230:
	v_mov_b32_e32 v3, 0
	global_load_dwordx2 v[14:15], v3, s[10:11] offset:24 glc
	s_waitcnt vmcnt(0)
	buffer_wbinvl1_vol
	global_load_dwordx2 v[0:1], v3, s[10:11] offset:40
	global_load_dwordx2 v[4:5], v3, s[10:11]
	s_waitcnt vmcnt(1)
	v_and_b32_e32 v0, v0, v14
	v_and_b32_e32 v1, v1, v15
	v_mul_lo_u32 v1, v1, 24
	v_mul_hi_u32 v12, v0, 24
	v_mul_lo_u32 v0, v0, 24
	v_add_u32_e32 v1, v12, v1
	s_waitcnt vmcnt(0)
	v_add_co_u32_e32 v0, vcc, v4, v0
	v_addc_co_u32_e32 v1, vcc, v5, v1, vcc
	global_load_dwordx2 v[12:13], v[0:1], off glc
	s_waitcnt vmcnt(0)
	global_atomic_cmpswap_x2 v[0:1], v3, v[12:15], s[10:11] offset:24 glc
	s_waitcnt vmcnt(0)
	buffer_wbinvl1_vol
	v_cmp_ne_u64_e32 vcc, v[0:1], v[14:15]
	s_and_saveexec_b64 s[12:13], vcc
	s_cbranch_execz .LBB1_234
; %bb.231:
	s_mov_b64 s[14:15], 0
.LBB1_232:                              ; =>This Inner Loop Header: Depth=1
	s_sleep 1
	global_load_dwordx2 v[4:5], v3, s[10:11] offset:40
	global_load_dwordx2 v[12:13], v3, s[10:11]
	v_mov_b32_e32 v15, v1
	v_mov_b32_e32 v14, v0
	s_waitcnt vmcnt(1)
	v_and_b32_e32 v0, v4, v14
	s_waitcnt vmcnt(0)
	v_mad_u64_u32 v[0:1], s[16:17], v0, 24, v[12:13]
	v_and_b32_e32 v4, v5, v15
	v_mad_u64_u32 v[4:5], s[16:17], v4, 24, v[1:2]
	v_mov_b32_e32 v1, v4
	global_load_dwordx2 v[12:13], v[0:1], off glc
	s_waitcnt vmcnt(0)
	global_atomic_cmpswap_x2 v[0:1], v3, v[12:15], s[10:11] offset:24 glc
	s_waitcnt vmcnt(0)
	buffer_wbinvl1_vol
	v_cmp_eq_u64_e32 vcc, v[0:1], v[14:15]
	s_or_b64 s[14:15], vcc, s[14:15]
	s_andn2_b64 exec, exec, s[14:15]
	s_cbranch_execnz .LBB1_232
; %bb.233:
	s_or_b64 exec, exec, s[14:15]
.LBB1_234:
	s_or_b64 exec, exec, s[12:13]
.LBB1_235:
	s_or_b64 exec, exec, s[6:7]
	s_waitcnt vmcnt(0)
	v_mov_b32_e32 v12, 0
	global_load_dwordx2 v[3:4], v12, s[10:11] offset:40
	global_load_dwordx4 v[14:17], v12, s[10:11]
	v_readfirstlane_b32 s7, v1
	v_readfirstlane_b32 s6, v0
	s_mov_b64 s[12:13], exec
	s_waitcnt vmcnt(1)
	v_readfirstlane_b32 s14, v3
	v_readfirstlane_b32 s15, v4
	s_and_b64 s[14:15], s[14:15], s[6:7]
	s_mul_i32 s16, s15, 24
	s_mul_hi_u32 s17, s14, 24
	s_mul_i32 s18, s14, 24
	s_add_i32 s16, s17, s16
	v_mov_b32_e32 v1, s16
	s_waitcnt vmcnt(0)
	v_add_co_u32_e32 v0, vcc, s18, v14
	v_addc_co_u32_e32 v1, vcc, v15, v1, vcc
	s_and_saveexec_b64 s[16:17], s[4:5]
	s_cbranch_execz .LBB1_237
; %bb.236:
	v_mov_b32_e32 v19, s13
	v_mov_b32_e32 v18, s12
	;; [unrolled: 1-line block ×4, first 2 shown]
	global_store_dwordx4 v[0:1], v[18:21], off offset:8
.LBB1_237:
	s_or_b64 exec, exec, s[16:17]
	s_lshl_b64 s[12:13], s[14:15], 12
	v_mov_b32_e32 v3, s13
	v_add_co_u32_e32 v5, vcc, s12, v16
	v_addc_co_u32_e32 v16, vcc, v17, v3, vcc
	s_movk_i32 s12, 0xff1f
	v_and_or_b32 v10, v10, s12, 32
	s_mov_b32 s12, 0
	v_mov_b32_e32 v13, v12
	v_readfirstlane_b32 s16, v5
	v_readfirstlane_b32 s17, v16
	v_add_co_u32_e32 v3, vcc, v5, v39
	s_mov_b32 s13, s12
	s_mov_b32 s14, s12
	;; [unrolled: 1-line block ×3, first 2 shown]
	s_nop 0
	global_store_dwordx4 v39, v[10:13], s[16:17]
	v_addc_co_u32_e32 v4, vcc, 0, v16, vcc
	v_mov_b32_e32 v10, s12
	v_mov_b32_e32 v11, s13
	;; [unrolled: 1-line block ×4, first 2 shown]
	global_store_dwordx4 v39, v[10:13], s[16:17] offset:16
	global_store_dwordx4 v39, v[10:13], s[16:17] offset:32
	;; [unrolled: 1-line block ×3, first 2 shown]
	s_and_saveexec_b64 s[12:13], s[4:5]
	s_cbranch_execz .LBB1_245
; %bb.238:
	v_mov_b32_e32 v5, 0
	global_load_dwordx2 v[18:19], v5, s[10:11] offset:32 glc
	global_load_dwordx2 v[10:11], v5, s[10:11] offset:40
	v_mov_b32_e32 v16, s6
	v_mov_b32_e32 v17, s7
	s_waitcnt vmcnt(0)
	v_readfirstlane_b32 s14, v10
	v_readfirstlane_b32 s15, v11
	s_and_b64 s[14:15], s[14:15], s[6:7]
	s_mul_i32 s15, s15, 24
	s_mul_hi_u32 s16, s14, 24
	s_mul_i32 s14, s14, 24
	s_add_i32 s15, s16, s15
	v_mov_b32_e32 v10, s15
	v_add_co_u32_e32 v14, vcc, s14, v14
	v_addc_co_u32_e32 v15, vcc, v15, v10, vcc
	global_store_dwordx2 v[14:15], v[18:19], off
	s_waitcnt vmcnt(0)
	global_atomic_cmpswap_x2 v[12:13], v5, v[16:19], s[10:11] offset:32 glc
	s_waitcnt vmcnt(0)
	v_cmp_ne_u64_e32 vcc, v[12:13], v[18:19]
	s_and_saveexec_b64 s[14:15], vcc
	s_cbranch_execz .LBB1_241
; %bb.239:
	s_mov_b64 s[16:17], 0
.LBB1_240:                              ; =>This Inner Loop Header: Depth=1
	s_sleep 1
	global_store_dwordx2 v[14:15], v[12:13], off
	v_mov_b32_e32 v10, s6
	v_mov_b32_e32 v11, s7
	s_waitcnt vmcnt(0)
	global_atomic_cmpswap_x2 v[10:11], v5, v[10:13], s[10:11] offset:32 glc
	s_waitcnt vmcnt(0)
	v_cmp_eq_u64_e32 vcc, v[10:11], v[12:13]
	v_mov_b32_e32 v13, v11
	s_or_b64 s[16:17], vcc, s[16:17]
	v_mov_b32_e32 v12, v10
	s_andn2_b64 exec, exec, s[16:17]
	s_cbranch_execnz .LBB1_240
.LBB1_241:
	s_or_b64 exec, exec, s[14:15]
	v_mov_b32_e32 v13, 0
	global_load_dwordx2 v[10:11], v13, s[10:11] offset:16
	s_mov_b64 s[14:15], exec
	v_mbcnt_lo_u32_b32 v5, s14, 0
	v_mbcnt_hi_u32_b32 v5, s15, v5
	v_cmp_eq_u32_e32 vcc, 0, v5
	s_and_saveexec_b64 s[16:17], vcc
	s_cbranch_execz .LBB1_243
; %bb.242:
	s_bcnt1_i32_b64 s14, s[14:15]
	v_mov_b32_e32 v12, s14
	s_waitcnt vmcnt(0)
	global_atomic_add_x2 v[10:11], v[12:13], off offset:8
.LBB1_243:
	s_or_b64 exec, exec, s[16:17]
	s_waitcnt vmcnt(0)
	global_load_dwordx2 v[12:13], v[10:11], off offset:16
	s_waitcnt vmcnt(0)
	v_cmp_eq_u64_e32 vcc, 0, v[12:13]
	s_cbranch_vccnz .LBB1_245
; %bb.244:
	global_load_dword v10, v[10:11], off offset:24
	v_mov_b32_e32 v11, 0
	s_waitcnt vmcnt(0)
	v_readfirstlane_b32 s14, v10
	s_and_b32 m0, s14, 0xffffff
	global_store_dwordx2 v[12:13], v[10:11], off
	s_sendmsg sendmsg(MSG_INTERRUPT)
.LBB1_245:
	s_or_b64 exec, exec, s[12:13]
	s_branch .LBB1_249
.LBB1_246:                              ;   in Loop: Header=BB1_249 Depth=1
	s_or_b64 exec, exec, s[12:13]
	v_readfirstlane_b32 s12, v5
	s_cmp_eq_u32 s12, 0
	s_cbranch_scc1 .LBB1_248
; %bb.247:                              ;   in Loop: Header=BB1_249 Depth=1
	s_sleep 1
	s_cbranch_execnz .LBB1_249
	s_branch .LBB1_251
.LBB1_248:
	s_branch .LBB1_251
.LBB1_249:                              ; =>This Inner Loop Header: Depth=1
	v_mov_b32_e32 v5, 1
	s_and_saveexec_b64 s[12:13], s[4:5]
	s_cbranch_execz .LBB1_246
; %bb.250:                              ;   in Loop: Header=BB1_249 Depth=1
	global_load_dword v5, v[0:1], off offset:20 glc
	s_waitcnt vmcnt(0)
	buffer_wbinvl1_vol
	v_and_b32_e32 v5, 1, v5
	s_branch .LBB1_246
.LBB1_251:
	global_load_dwordx2 v[12:13], v[3:4], off
	s_and_saveexec_b64 s[12:13], s[4:5]
	s_cbranch_execz .LBB1_254
; %bb.252:
	v_mov_b32_e32 v3, 0
	global_load_dwordx2 v[0:1], v3, s[10:11] offset:40
	global_load_dwordx2 v[18:19], v3, s[10:11] offset:24 glc
	global_load_dwordx2 v[4:5], v3, s[10:11]
	s_waitcnt vmcnt(2)
	v_readfirstlane_b32 s14, v0
	v_readfirstlane_b32 s15, v1
	s_add_u32 s16, s14, 1
	s_addc_u32 s17, s15, 0
	s_add_u32 s4, s16, s6
	s_addc_u32 s5, s17, s7
	s_cmp_eq_u64 s[4:5], 0
	s_cselect_b32 s5, s17, s5
	s_cselect_b32 s4, s16, s4
	s_and_b64 s[6:7], s[4:5], s[14:15]
	s_mul_i32 s7, s7, 24
	s_mul_hi_u32 s14, s6, 24
	s_mul_i32 s6, s6, 24
	s_add_i32 s7, s14, s7
	v_mov_b32_e32 v1, s7
	s_waitcnt vmcnt(0)
	v_add_co_u32_e32 v0, vcc, s6, v4
	v_addc_co_u32_e32 v1, vcc, v5, v1, vcc
	v_mov_b32_e32 v16, s4
	global_store_dwordx2 v[0:1], v[18:19], off
	v_mov_b32_e32 v17, s5
	s_waitcnt vmcnt(0)
	global_atomic_cmpswap_x2 v[16:17], v3, v[16:19], s[10:11] offset:24 glc
	s_mov_b64 s[6:7], 0
	s_waitcnt vmcnt(0)
	v_cmp_ne_u64_e32 vcc, v[16:17], v[18:19]
	s_and_b64 exec, exec, vcc
	s_cbranch_execz .LBB1_254
.LBB1_253:                              ; =>This Inner Loop Header: Depth=1
	s_sleep 1
	global_store_dwordx2 v[0:1], v[16:17], off
	v_mov_b32_e32 v14, s4
	v_mov_b32_e32 v15, s5
	s_waitcnt vmcnt(0)
	global_atomic_cmpswap_x2 v[4:5], v3, v[14:17], s[10:11] offset:24 glc
	s_waitcnt vmcnt(0)
	v_cmp_eq_u64_e32 vcc, v[4:5], v[16:17]
	v_mov_b32_e32 v17, v5
	s_or_b64 s[6:7], vcc, s[6:7]
	v_mov_b32_e32 v16, v4
	s_andn2_b64 exec, exec, s[6:7]
	s_cbranch_execnz .LBB1_253
.LBB1_254:
	s_or_b64 exec, exec, s[12:13]
.LBB1_255:
	v_readfirstlane_b32 s4, v38
	v_mov_b32_e32 v0, 0
	v_mov_b32_e32 v1, 0
	v_cmp_eq_u32_e64 s[4:5], s4, v38
	s_and_saveexec_b64 s[6:7], s[4:5]
	s_cbranch_execz .LBB1_261
; %bb.256:
	v_mov_b32_e32 v3, 0
	global_load_dwordx2 v[16:17], v3, s[10:11] offset:24 glc
	s_waitcnt vmcnt(0)
	buffer_wbinvl1_vol
	global_load_dwordx2 v[0:1], v3, s[10:11] offset:40
	global_load_dwordx2 v[4:5], v3, s[10:11]
	s_waitcnt vmcnt(1)
	v_and_b32_e32 v0, v0, v16
	v_and_b32_e32 v1, v1, v17
	v_mul_lo_u32 v1, v1, 24
	v_mul_hi_u32 v10, v0, 24
	v_mul_lo_u32 v0, v0, 24
	v_add_u32_e32 v1, v10, v1
	s_waitcnt vmcnt(0)
	v_add_co_u32_e32 v0, vcc, v4, v0
	v_addc_co_u32_e32 v1, vcc, v5, v1, vcc
	global_load_dwordx2 v[14:15], v[0:1], off glc
	s_waitcnt vmcnt(0)
	global_atomic_cmpswap_x2 v[0:1], v3, v[14:17], s[10:11] offset:24 glc
	s_waitcnt vmcnt(0)
	buffer_wbinvl1_vol
	v_cmp_ne_u64_e32 vcc, v[0:1], v[16:17]
	s_and_saveexec_b64 s[12:13], vcc
	s_cbranch_execz .LBB1_260
; %bb.257:
	s_mov_b64 s[14:15], 0
.LBB1_258:                              ; =>This Inner Loop Header: Depth=1
	s_sleep 1
	global_load_dwordx2 v[4:5], v3, s[10:11] offset:40
	global_load_dwordx2 v[10:11], v3, s[10:11]
	v_mov_b32_e32 v17, v1
	v_mov_b32_e32 v16, v0
	s_waitcnt vmcnt(1)
	v_and_b32_e32 v0, v4, v16
	s_waitcnt vmcnt(0)
	v_mad_u64_u32 v[0:1], s[16:17], v0, 24, v[10:11]
	v_and_b32_e32 v4, v5, v17
	v_mad_u64_u32 v[4:5], s[16:17], v4, 24, v[1:2]
	v_mov_b32_e32 v1, v4
	global_load_dwordx2 v[14:15], v[0:1], off glc
	s_waitcnt vmcnt(0)
	global_atomic_cmpswap_x2 v[0:1], v3, v[14:17], s[10:11] offset:24 glc
	s_waitcnt vmcnt(0)
	buffer_wbinvl1_vol
	v_cmp_eq_u64_e32 vcc, v[0:1], v[16:17]
	s_or_b64 s[14:15], vcc, s[14:15]
	s_andn2_b64 exec, exec, s[14:15]
	s_cbranch_execnz .LBB1_258
; %bb.259:
	s_or_b64 exec, exec, s[14:15]
.LBB1_260:
	s_or_b64 exec, exec, s[12:13]
.LBB1_261:
	s_or_b64 exec, exec, s[6:7]
	v_mov_b32_e32 v15, 0
	global_load_dwordx2 v[3:4], v15, s[10:11] offset:40
	global_load_dwordx4 v[16:19], v15, s[10:11]
	v_readfirstlane_b32 s7, v1
	v_readfirstlane_b32 s6, v0
	s_mov_b64 s[12:13], exec
	s_waitcnt vmcnt(1)
	v_readfirstlane_b32 s14, v3
	v_readfirstlane_b32 s15, v4
	s_and_b64 s[14:15], s[14:15], s[6:7]
	s_mul_i32 s16, s15, 24
	s_mul_hi_u32 s17, s14, 24
	s_mul_i32 s18, s14, 24
	s_add_i32 s16, s17, s16
	v_mov_b32_e32 v0, s16
	s_waitcnt vmcnt(0)
	v_add_co_u32_e32 v4, vcc, s18, v16
	v_addc_co_u32_e32 v5, vcc, v17, v0, vcc
	s_and_saveexec_b64 s[16:17], s[4:5]
	s_cbranch_execz .LBB1_263
; %bb.262:
	v_mov_b32_e32 v21, s13
	v_mov_b32_e32 v20, s12
	;; [unrolled: 1-line block ×4, first 2 shown]
	global_store_dwordx4 v[4:5], v[20:23], off offset:8
.LBB1_263:
	s_or_b64 exec, exec, s[16:17]
	s_lshl_b64 s[12:13], s[14:15], 12
	v_mov_b32_e32 v0, s13
	v_add_co_u32_e32 v1, vcc, s12, v18
	v_addc_co_u32_e32 v0, vcc, v19, v0, vcc
	s_movk_i32 s12, 0xff1f
	v_and_or_b32 v12, v12, s12, 32
	v_add_co_u32_e32 v10, vcc, v1, v39
	s_mov_b32 s12, 0
	v_addc_co_u32_e32 v11, vcc, 0, v0, vcc
	v_mov_b32_e32 v14, v2
	v_readfirstlane_b32 s16, v1
	v_readfirstlane_b32 s17, v0
	s_mov_b32 s13, s12
	s_mov_b32 s14, s12
	;; [unrolled: 1-line block ×3, first 2 shown]
	v_mov_b32_e32 v0, s12
	v_mov_b32_e32 v1, s13
	;; [unrolled: 1-line block ×4, first 2 shown]
	global_store_dwordx4 v39, v[12:15], s[16:17]
	global_store_dwordx4 v39, v[0:3], s[16:17] offset:16
	global_store_dwordx4 v39, v[0:3], s[16:17] offset:32
	global_store_dwordx4 v39, v[0:3], s[16:17] offset:48
	s_and_saveexec_b64 s[12:13], s[4:5]
	s_cbranch_execz .LBB1_271
; %bb.264:
	v_mov_b32_e32 v14, 0
	global_load_dwordx2 v[20:21], v14, s[10:11] offset:32 glc
	global_load_dwordx2 v[0:1], v14, s[10:11] offset:40
	v_mov_b32_e32 v18, s6
	v_mov_b32_e32 v19, s7
	s_waitcnt vmcnt(0)
	v_readfirstlane_b32 s14, v0
	v_readfirstlane_b32 s15, v1
	s_and_b64 s[14:15], s[14:15], s[6:7]
	s_mul_i32 s15, s15, 24
	s_mul_hi_u32 s16, s14, 24
	s_mul_i32 s14, s14, 24
	s_add_i32 s15, s16, s15
	v_mov_b32_e32 v0, s15
	v_add_co_u32_e32 v12, vcc, s14, v16
	v_addc_co_u32_e32 v13, vcc, v17, v0, vcc
	global_store_dwordx2 v[12:13], v[20:21], off
	s_waitcnt vmcnt(0)
	global_atomic_cmpswap_x2 v[2:3], v14, v[18:21], s[10:11] offset:32 glc
	s_waitcnt vmcnt(0)
	v_cmp_ne_u64_e32 vcc, v[2:3], v[20:21]
	s_and_saveexec_b64 s[14:15], vcc
	s_cbranch_execz .LBB1_267
; %bb.265:
	s_mov_b64 s[16:17], 0
.LBB1_266:                              ; =>This Inner Loop Header: Depth=1
	s_sleep 1
	global_store_dwordx2 v[12:13], v[2:3], off
	v_mov_b32_e32 v0, s6
	v_mov_b32_e32 v1, s7
	s_waitcnt vmcnt(0)
	global_atomic_cmpswap_x2 v[0:1], v14, v[0:3], s[10:11] offset:32 glc
	s_waitcnt vmcnt(0)
	v_cmp_eq_u64_e32 vcc, v[0:1], v[2:3]
	v_mov_b32_e32 v3, v1
	s_or_b64 s[16:17], vcc, s[16:17]
	v_mov_b32_e32 v2, v0
	s_andn2_b64 exec, exec, s[16:17]
	s_cbranch_execnz .LBB1_266
.LBB1_267:
	s_or_b64 exec, exec, s[14:15]
	v_mov_b32_e32 v3, 0
	global_load_dwordx2 v[0:1], v3, s[10:11] offset:16
	s_mov_b64 s[14:15], exec
	v_mbcnt_lo_u32_b32 v2, s14, 0
	v_mbcnt_hi_u32_b32 v2, s15, v2
	v_cmp_eq_u32_e32 vcc, 0, v2
	s_and_saveexec_b64 s[16:17], vcc
	s_cbranch_execz .LBB1_269
; %bb.268:
	s_bcnt1_i32_b64 s14, s[14:15]
	v_mov_b32_e32 v2, s14
	s_waitcnt vmcnt(0)
	global_atomic_add_x2 v[0:1], v[2:3], off offset:8
.LBB1_269:
	s_or_b64 exec, exec, s[16:17]
	s_waitcnt vmcnt(0)
	global_load_dwordx2 v[2:3], v[0:1], off offset:16
	s_waitcnt vmcnt(0)
	v_cmp_eq_u64_e32 vcc, 0, v[2:3]
	s_cbranch_vccnz .LBB1_271
; %bb.270:
	global_load_dword v0, v[0:1], off offset:24
	v_mov_b32_e32 v1, 0
	s_waitcnt vmcnt(0)
	v_readfirstlane_b32 s14, v0
	s_and_b32 m0, s14, 0xffffff
	global_store_dwordx2 v[2:3], v[0:1], off
	s_sendmsg sendmsg(MSG_INTERRUPT)
.LBB1_271:
	s_or_b64 exec, exec, s[12:13]
	s_branch .LBB1_275
.LBB1_272:                              ;   in Loop: Header=BB1_275 Depth=1
	s_or_b64 exec, exec, s[12:13]
	v_readfirstlane_b32 s12, v0
	s_cmp_eq_u32 s12, 0
	s_cbranch_scc1 .LBB1_274
; %bb.273:                              ;   in Loop: Header=BB1_275 Depth=1
	s_sleep 1
	s_cbranch_execnz .LBB1_275
	s_branch .LBB1_277
.LBB1_274:
	s_branch .LBB1_277
.LBB1_275:                              ; =>This Inner Loop Header: Depth=1
	v_mov_b32_e32 v0, 1
	s_and_saveexec_b64 s[12:13], s[4:5]
	s_cbranch_execz .LBB1_272
; %bb.276:                              ;   in Loop: Header=BB1_275 Depth=1
	global_load_dword v0, v[4:5], off offset:20 glc
	s_waitcnt vmcnt(0)
	buffer_wbinvl1_vol
	v_and_b32_e32 v0, 1, v0
	s_branch .LBB1_272
.LBB1_277:
	global_load_dwordx2 v[0:1], v[10:11], off
	s_and_saveexec_b64 s[12:13], s[4:5]
	s_cbranch_execz .LBB1_280
; %bb.278:
	v_mov_b32_e32 v12, 0
	global_load_dwordx2 v[2:3], v12, s[10:11] offset:40
	global_load_dwordx2 v[15:16], v12, s[10:11] offset:24 glc
	global_load_dwordx2 v[4:5], v12, s[10:11]
	s_waitcnt vmcnt(2)
	v_readfirstlane_b32 s14, v2
	v_readfirstlane_b32 s15, v3
	s_add_u32 s16, s14, 1
	s_addc_u32 s17, s15, 0
	s_add_u32 s4, s16, s6
	s_addc_u32 s5, s17, s7
	s_cmp_eq_u64 s[4:5], 0
	s_cselect_b32 s5, s17, s5
	s_cselect_b32 s4, s16, s4
	s_and_b64 s[6:7], s[4:5], s[14:15]
	s_mul_i32 s7, s7, 24
	s_mul_hi_u32 s14, s6, 24
	s_mul_i32 s6, s6, 24
	s_add_i32 s7, s14, s7
	v_mov_b32_e32 v2, s7
	s_waitcnt vmcnt(0)
	v_add_co_u32_e32 v10, vcc, s6, v4
	v_addc_co_u32_e32 v11, vcc, v5, v2, vcc
	v_mov_b32_e32 v13, s4
	global_store_dwordx2 v[10:11], v[15:16], off
	v_mov_b32_e32 v14, s5
	s_waitcnt vmcnt(0)
	global_atomic_cmpswap_x2 v[4:5], v12, v[13:16], s[10:11] offset:24 glc
	s_mov_b64 s[6:7], 0
	s_waitcnt vmcnt(0)
	v_cmp_ne_u64_e32 vcc, v[4:5], v[15:16]
	s_and_b64 exec, exec, vcc
	s_cbranch_execz .LBB1_280
.LBB1_279:                              ; =>This Inner Loop Header: Depth=1
	s_sleep 1
	global_store_dwordx2 v[10:11], v[4:5], off
	v_mov_b32_e32 v2, s4
	v_mov_b32_e32 v3, s5
	s_waitcnt vmcnt(0)
	global_atomic_cmpswap_x2 v[2:3], v12, v[2:5], s[10:11] offset:24 glc
	s_waitcnt vmcnt(0)
	v_cmp_eq_u64_e32 vcc, v[2:3], v[4:5]
	v_mov_b32_e32 v5, v3
	s_or_b64 s[6:7], vcc, s[6:7]
	v_mov_b32_e32 v4, v2
	s_andn2_b64 exec, exec, s[6:7]
	s_cbranch_execnz .LBB1_279
.LBB1_280:
	s_or_b64 exec, exec, s[12:13]
	v_mov_b32_e32 v3, v6
	s_mov_b64 s[4:5], 0
	v_mov_b32_e32 v4, v7
.LBB1_281:                              ; =>This Inner Loop Header: Depth=1
	global_load_ubyte v5, v[3:4], off
	v_add_co_u32_e32 v2, vcc, 1, v3
	v_addc_co_u32_e32 v3, vcc, 0, v4, vcc
	v_mov_b32_e32 v4, v3
	v_mov_b32_e32 v3, v2
	s_waitcnt vmcnt(0)
	v_cmp_eq_u16_e32 vcc, 0, v5
	s_or_b64 s[4:5], vcc, s[4:5]
	s_andn2_b64 exec, exec, s[4:5]
	s_cbranch_execnz .LBB1_281
; %bb.282:
	s_or_b64 exec, exec, s[4:5]
	v_cmp_ne_u64_e32 vcc, 0, v[6:7]
	s_mov_b64 s[12:13], 0
	s_and_saveexec_b64 s[4:5], vcc
	s_xor_b64 s[6:7], exec, s[4:5]
	s_cbranch_execz .LBB1_368
; %bb.283:
	v_sub_u32_e32 v30, v2, v6
	v_ashrrev_i32_e32 v31, 31, v30
	v_and_b32_e32 v36, 2, v0
	v_mov_b32_e32 v33, 0
	v_and_b32_e32 v0, -3, v0
	s_mov_b32 s22, 0
	s_movk_i32 s23, 0x1e0
	v_mov_b32_e32 v12, 2
	v_mov_b32_e32 v13, 1
	s_branch .LBB1_285
.LBB1_284:                              ;   in Loop: Header=BB1_285 Depth=1
	s_or_b64 exec, exec, s[16:17]
	v_sub_co_u32_e32 v30, vcc, v30, v34
	v_subb_co_u32_e32 v31, vcc, v31, v35, vcc
	v_cmp_eq_u64_e32 vcc, 0, v[30:31]
	s_or_b64 s[12:13], vcc, s[12:13]
	v_add_co_u32_e32 v6, vcc, v6, v34
	v_addc_co_u32_e32 v7, vcc, v7, v35, vcc
	s_andn2_b64 exec, exec, s[12:13]
	s_cbranch_execz .LBB1_367
.LBB1_285:                              ; =>This Loop Header: Depth=1
                                        ;     Child Loop BB1_288 Depth 2
                                        ;     Child Loop BB1_296 Depth 2
	;; [unrolled: 1-line block ×11, first 2 shown]
	v_cmp_gt_u64_e32 vcc, 56, v[30:31]
	v_add_co_u32_e64 v10, s[4:5], 8, v6
	v_cndmask_b32_e32 v35, 0, v31, vcc
	v_cndmask_b32_e32 v34, 56, v30, vcc
	v_cmp_gt_u64_e32 vcc, 8, v[30:31]
	v_addc_co_u32_e64 v11, s[4:5], 0, v7, s[4:5]
	s_and_saveexec_b64 s[4:5], vcc
	s_xor_b64 s[4:5], exec, s[4:5]
	s_cbranch_execz .LBB1_291
; %bb.286:                              ;   in Loop: Header=BB1_285 Depth=1
	v_mov_b32_e32 v2, 0
	v_cmp_ne_u64_e32 vcc, 0, v[30:31]
	v_mov_b32_e32 v3, 0
	s_and_saveexec_b64 s[14:15], vcc
	s_cbranch_execz .LBB1_290
; %bb.287:                              ;   in Loop: Header=BB1_285 Depth=1
	v_lshlrev_b64 v[4:5], 3, v[34:35]
	v_mov_b32_e32 v2, 0
	v_mov_b32_e32 v11, v7
	s_mov_b64 s[16:17], 0
	v_mov_b32_e32 v3, 0
	v_mov_b32_e32 v10, v6
	s_mov_b64 s[18:19], 0
.LBB1_288:                              ;   Parent Loop BB1_285 Depth=1
                                        ; =>  This Inner Loop Header: Depth=2
	global_load_ubyte v5, v[10:11], off
	v_mov_b32_e32 v15, s22
	v_add_co_u32_e32 v10, vcc, 1, v10
	v_addc_co_u32_e32 v11, vcc, 0, v11, vcc
	s_waitcnt vmcnt(0)
	v_and_b32_e32 v14, 0xffff, v5
	v_lshlrev_b64 v[14:15], s18, v[14:15]
	s_add_u32 s18, s18, 8
	s_addc_u32 s19, s19, 0
	v_cmp_eq_u32_e32 vcc, s18, v4
	v_or_b32_e32 v3, v15, v3
	s_or_b64 s[16:17], vcc, s[16:17]
	v_or_b32_e32 v2, v14, v2
	s_andn2_b64 exec, exec, s[16:17]
	s_cbranch_execnz .LBB1_288
; %bb.289:                              ;   in Loop: Header=BB1_285 Depth=1
	s_or_b64 exec, exec, s[16:17]
.LBB1_290:                              ;   in Loop: Header=BB1_285 Depth=1
	s_or_b64 exec, exec, s[14:15]
	v_mov_b32_e32 v11, v7
	v_mov_b32_e32 v10, v6
.LBB1_291:                              ;   in Loop: Header=BB1_285 Depth=1
	s_or_saveexec_b64 s[4:5], s[4:5]
	v_mov_b32_e32 v16, 0
	s_xor_b64 exec, exec, s[4:5]
	s_cbranch_execz .LBB1_293
; %bb.292:                              ;   in Loop: Header=BB1_285 Depth=1
	global_load_dwordx2 v[2:3], v[6:7], off
	v_add_u32_e32 v16, -8, v34
.LBB1_293:                              ;   in Loop: Header=BB1_285 Depth=1
	s_or_b64 exec, exec, s[4:5]
	v_add_co_u32_e64 v4, s[4:5], 8, v10
	v_cmp_gt_u32_e32 vcc, 8, v16
	v_addc_co_u32_e64 v5, s[4:5], 0, v11, s[4:5]
                                        ; implicit-def: $vgpr14_vgpr15
	s_and_saveexec_b64 s[4:5], vcc
	s_xor_b64 s[4:5], exec, s[4:5]
	s_cbranch_execz .LBB1_299
; %bb.294:                              ;   in Loop: Header=BB1_285 Depth=1
	v_mov_b32_e32 v14, 0
	v_mov_b32_e32 v15, 0
	v_cmp_ne_u32_e32 vcc, 0, v16
	s_and_saveexec_b64 s[14:15], vcc
	s_cbranch_execz .LBB1_298
; %bb.295:                              ;   in Loop: Header=BB1_285 Depth=1
	v_mov_b32_e32 v14, 0
	s_mov_b64 s[16:17], 0
	v_mov_b32_e32 v15, 0
	s_mov_b64 s[18:19], 0
	s_mov_b64 s[20:21], 0
.LBB1_296:                              ;   Parent Loop BB1_285 Depth=1
                                        ; =>  This Inner Loop Header: Depth=2
	v_mov_b32_e32 v5, s21
	v_add_co_u32_e32 v4, vcc, s20, v10
	v_addc_co_u32_e32 v5, vcc, v11, v5, vcc
	global_load_ubyte v4, v[4:5], off
	s_add_u32 s20, s20, 1
	v_mov_b32_e32 v5, s22
	s_addc_u32 s21, s21, 0
	v_cmp_eq_u32_e32 vcc, s20, v16
	s_waitcnt vmcnt(0)
	v_and_b32_e32 v4, 0xffff, v4
	v_lshlrev_b64 v[4:5], s18, v[4:5]
	s_add_u32 s18, s18, 8
	s_addc_u32 s19, s19, 0
	v_or_b32_e32 v15, v5, v15
	s_or_b64 s[16:17], vcc, s[16:17]
	v_or_b32_e32 v14, v4, v14
	s_andn2_b64 exec, exec, s[16:17]
	s_cbranch_execnz .LBB1_296
; %bb.297:                              ;   in Loop: Header=BB1_285 Depth=1
	s_or_b64 exec, exec, s[16:17]
.LBB1_298:                              ;   in Loop: Header=BB1_285 Depth=1
	s_or_b64 exec, exec, s[14:15]
	v_mov_b32_e32 v4, v10
	v_mov_b32_e32 v5, v11
                                        ; implicit-def: $vgpr16
.LBB1_299:                              ;   in Loop: Header=BB1_285 Depth=1
	s_or_saveexec_b64 s[4:5], s[4:5]
	v_mov_b32_e32 v18, 0
	s_xor_b64 exec, exec, s[4:5]
	s_cbranch_execz .LBB1_301
; %bb.300:                              ;   in Loop: Header=BB1_285 Depth=1
	global_load_dwordx2 v[14:15], v[10:11], off
	v_add_u32_e32 v18, -8, v16
.LBB1_301:                              ;   in Loop: Header=BB1_285 Depth=1
	s_or_b64 exec, exec, s[4:5]
	v_add_co_u32_e64 v10, s[4:5], 8, v4
	v_cmp_gt_u32_e32 vcc, 8, v18
	v_addc_co_u32_e64 v11, s[4:5], 0, v5, s[4:5]
	s_and_saveexec_b64 s[4:5], vcc
	s_xor_b64 s[4:5], exec, s[4:5]
	s_cbranch_execz .LBB1_307
; %bb.302:                              ;   in Loop: Header=BB1_285 Depth=1
	v_mov_b32_e32 v16, 0
	v_mov_b32_e32 v17, 0
	v_cmp_ne_u32_e32 vcc, 0, v18
	s_and_saveexec_b64 s[14:15], vcc
	s_cbranch_execz .LBB1_306
; %bb.303:                              ;   in Loop: Header=BB1_285 Depth=1
	v_mov_b32_e32 v16, 0
	s_mov_b64 s[16:17], 0
	v_mov_b32_e32 v17, 0
	s_mov_b64 s[18:19], 0
	s_mov_b64 s[20:21], 0
.LBB1_304:                              ;   Parent Loop BB1_285 Depth=1
                                        ; =>  This Inner Loop Header: Depth=2
	v_mov_b32_e32 v11, s21
	v_add_co_u32_e32 v10, vcc, s20, v4
	v_addc_co_u32_e32 v11, vcc, v5, v11, vcc
	global_load_ubyte v10, v[10:11], off
	s_add_u32 s20, s20, 1
	v_mov_b32_e32 v11, s22
	s_addc_u32 s21, s21, 0
	v_cmp_eq_u32_e32 vcc, s20, v18
	s_waitcnt vmcnt(0)
	v_and_b32_e32 v10, 0xffff, v10
	v_lshlrev_b64 v[10:11], s18, v[10:11]
	s_add_u32 s18, s18, 8
	s_addc_u32 s19, s19, 0
	v_or_b32_e32 v17, v11, v17
	s_or_b64 s[16:17], vcc, s[16:17]
	v_or_b32_e32 v16, v10, v16
	s_andn2_b64 exec, exec, s[16:17]
	s_cbranch_execnz .LBB1_304
; %bb.305:                              ;   in Loop: Header=BB1_285 Depth=1
	s_or_b64 exec, exec, s[16:17]
.LBB1_306:                              ;   in Loop: Header=BB1_285 Depth=1
	s_or_b64 exec, exec, s[14:15]
	v_mov_b32_e32 v11, v5
	v_mov_b32_e32 v10, v4
                                        ; implicit-def: $vgpr18
.LBB1_307:                              ;   in Loop: Header=BB1_285 Depth=1
	s_or_saveexec_b64 s[4:5], s[4:5]
	v_mov_b32_e32 v20, 0
	s_xor_b64 exec, exec, s[4:5]
	s_cbranch_execz .LBB1_309
; %bb.308:                              ;   in Loop: Header=BB1_285 Depth=1
	global_load_dwordx2 v[16:17], v[4:5], off
	v_add_u32_e32 v20, -8, v18
.LBB1_309:                              ;   in Loop: Header=BB1_285 Depth=1
	s_or_b64 exec, exec, s[4:5]
	v_add_co_u32_e64 v4, s[4:5], 8, v10
	v_cmp_gt_u32_e32 vcc, 8, v20
	v_addc_co_u32_e64 v5, s[4:5], 0, v11, s[4:5]
                                        ; implicit-def: $vgpr18_vgpr19
	s_and_saveexec_b64 s[4:5], vcc
	s_xor_b64 s[4:5], exec, s[4:5]
	s_cbranch_execz .LBB1_315
; %bb.310:                              ;   in Loop: Header=BB1_285 Depth=1
	v_mov_b32_e32 v18, 0
	v_mov_b32_e32 v19, 0
	v_cmp_ne_u32_e32 vcc, 0, v20
	s_and_saveexec_b64 s[14:15], vcc
	s_cbranch_execz .LBB1_314
; %bb.311:                              ;   in Loop: Header=BB1_285 Depth=1
	v_mov_b32_e32 v18, 0
	s_mov_b64 s[16:17], 0
	v_mov_b32_e32 v19, 0
	s_mov_b64 s[18:19], 0
	s_mov_b64 s[20:21], 0
.LBB1_312:                              ;   Parent Loop BB1_285 Depth=1
                                        ; =>  This Inner Loop Header: Depth=2
	v_mov_b32_e32 v5, s21
	v_add_co_u32_e32 v4, vcc, s20, v10
	v_addc_co_u32_e32 v5, vcc, v11, v5, vcc
	global_load_ubyte v4, v[4:5], off
	s_add_u32 s20, s20, 1
	v_mov_b32_e32 v5, s22
	s_addc_u32 s21, s21, 0
	v_cmp_eq_u32_e32 vcc, s20, v20
	s_waitcnt vmcnt(0)
	v_and_b32_e32 v4, 0xffff, v4
	v_lshlrev_b64 v[4:5], s18, v[4:5]
	s_add_u32 s18, s18, 8
	s_addc_u32 s19, s19, 0
	v_or_b32_e32 v19, v5, v19
	s_or_b64 s[16:17], vcc, s[16:17]
	v_or_b32_e32 v18, v4, v18
	s_andn2_b64 exec, exec, s[16:17]
	s_cbranch_execnz .LBB1_312
; %bb.313:                              ;   in Loop: Header=BB1_285 Depth=1
	s_or_b64 exec, exec, s[16:17]
.LBB1_314:                              ;   in Loop: Header=BB1_285 Depth=1
	s_or_b64 exec, exec, s[14:15]
	v_mov_b32_e32 v4, v10
	v_mov_b32_e32 v5, v11
                                        ; implicit-def: $vgpr20
.LBB1_315:                              ;   in Loop: Header=BB1_285 Depth=1
	s_or_saveexec_b64 s[4:5], s[4:5]
	v_mov_b32_e32 v22, 0
	s_xor_b64 exec, exec, s[4:5]
	s_cbranch_execz .LBB1_317
; %bb.316:                              ;   in Loop: Header=BB1_285 Depth=1
	global_load_dwordx2 v[18:19], v[10:11], off
	v_add_u32_e32 v22, -8, v20
.LBB1_317:                              ;   in Loop: Header=BB1_285 Depth=1
	s_or_b64 exec, exec, s[4:5]
	v_add_co_u32_e64 v10, s[4:5], 8, v4
	v_cmp_gt_u32_e32 vcc, 8, v22
	v_addc_co_u32_e64 v11, s[4:5], 0, v5, s[4:5]
	s_and_saveexec_b64 s[4:5], vcc
	s_xor_b64 s[4:5], exec, s[4:5]
	s_cbranch_execz .LBB1_323
; %bb.318:                              ;   in Loop: Header=BB1_285 Depth=1
	v_mov_b32_e32 v20, 0
	v_mov_b32_e32 v21, 0
	v_cmp_ne_u32_e32 vcc, 0, v22
	s_and_saveexec_b64 s[14:15], vcc
	s_cbranch_execz .LBB1_322
; %bb.319:                              ;   in Loop: Header=BB1_285 Depth=1
	v_mov_b32_e32 v20, 0
	s_mov_b64 s[16:17], 0
	v_mov_b32_e32 v21, 0
	s_mov_b64 s[18:19], 0
	s_mov_b64 s[20:21], 0
.LBB1_320:                              ;   Parent Loop BB1_285 Depth=1
                                        ; =>  This Inner Loop Header: Depth=2
	v_mov_b32_e32 v11, s21
	v_add_co_u32_e32 v10, vcc, s20, v4
	v_addc_co_u32_e32 v11, vcc, v5, v11, vcc
	global_load_ubyte v10, v[10:11], off
	s_add_u32 s20, s20, 1
	v_mov_b32_e32 v11, s22
	s_addc_u32 s21, s21, 0
	v_cmp_eq_u32_e32 vcc, s20, v22
	s_waitcnt vmcnt(0)
	v_and_b32_e32 v10, 0xffff, v10
	v_lshlrev_b64 v[10:11], s18, v[10:11]
	s_add_u32 s18, s18, 8
	s_addc_u32 s19, s19, 0
	v_or_b32_e32 v21, v11, v21
	s_or_b64 s[16:17], vcc, s[16:17]
	v_or_b32_e32 v20, v10, v20
	s_andn2_b64 exec, exec, s[16:17]
	s_cbranch_execnz .LBB1_320
; %bb.321:                              ;   in Loop: Header=BB1_285 Depth=1
	s_or_b64 exec, exec, s[16:17]
.LBB1_322:                              ;   in Loop: Header=BB1_285 Depth=1
	s_or_b64 exec, exec, s[14:15]
	v_mov_b32_e32 v11, v5
	v_mov_b32_e32 v10, v4
                                        ; implicit-def: $vgpr22
.LBB1_323:                              ;   in Loop: Header=BB1_285 Depth=1
	s_or_saveexec_b64 s[4:5], s[4:5]
	v_mov_b32_e32 v24, 0
	s_xor_b64 exec, exec, s[4:5]
	s_cbranch_execz .LBB1_325
; %bb.324:                              ;   in Loop: Header=BB1_285 Depth=1
	global_load_dwordx2 v[20:21], v[4:5], off
	v_add_u32_e32 v24, -8, v22
.LBB1_325:                              ;   in Loop: Header=BB1_285 Depth=1
	s_or_b64 exec, exec, s[4:5]
	v_add_co_u32_e64 v4, s[4:5], 8, v10
	v_cmp_gt_u32_e32 vcc, 8, v24
	v_addc_co_u32_e64 v5, s[4:5], 0, v11, s[4:5]
                                        ; implicit-def: $vgpr22_vgpr23
	s_and_saveexec_b64 s[4:5], vcc
	s_xor_b64 s[4:5], exec, s[4:5]
	s_cbranch_execz .LBB1_331
; %bb.326:                              ;   in Loop: Header=BB1_285 Depth=1
	v_mov_b32_e32 v22, 0
	v_mov_b32_e32 v23, 0
	v_cmp_ne_u32_e32 vcc, 0, v24
	s_and_saveexec_b64 s[14:15], vcc
	s_cbranch_execz .LBB1_330
; %bb.327:                              ;   in Loop: Header=BB1_285 Depth=1
	v_mov_b32_e32 v22, 0
	s_mov_b64 s[16:17], 0
	v_mov_b32_e32 v23, 0
	s_mov_b64 s[18:19], 0
	s_mov_b64 s[20:21], 0
.LBB1_328:                              ;   Parent Loop BB1_285 Depth=1
                                        ; =>  This Inner Loop Header: Depth=2
	v_mov_b32_e32 v5, s21
	v_add_co_u32_e32 v4, vcc, s20, v10
	v_addc_co_u32_e32 v5, vcc, v11, v5, vcc
	global_load_ubyte v4, v[4:5], off
	s_add_u32 s20, s20, 1
	v_mov_b32_e32 v5, s22
	s_addc_u32 s21, s21, 0
	v_cmp_eq_u32_e32 vcc, s20, v24
	s_waitcnt vmcnt(0)
	v_and_b32_e32 v4, 0xffff, v4
	v_lshlrev_b64 v[4:5], s18, v[4:5]
	s_add_u32 s18, s18, 8
	s_addc_u32 s19, s19, 0
	v_or_b32_e32 v23, v5, v23
	s_or_b64 s[16:17], vcc, s[16:17]
	v_or_b32_e32 v22, v4, v22
	s_andn2_b64 exec, exec, s[16:17]
	s_cbranch_execnz .LBB1_328
; %bb.329:                              ;   in Loop: Header=BB1_285 Depth=1
	s_or_b64 exec, exec, s[16:17]
.LBB1_330:                              ;   in Loop: Header=BB1_285 Depth=1
	s_or_b64 exec, exec, s[14:15]
	v_mov_b32_e32 v4, v10
	v_mov_b32_e32 v5, v11
                                        ; implicit-def: $vgpr24
.LBB1_331:                              ;   in Loop: Header=BB1_285 Depth=1
	s_or_saveexec_b64 s[4:5], s[4:5]
	v_mov_b32_e32 v26, 0
	s_xor_b64 exec, exec, s[4:5]
	s_cbranch_execz .LBB1_333
; %bb.332:                              ;   in Loop: Header=BB1_285 Depth=1
	global_load_dwordx2 v[22:23], v[10:11], off
	v_add_u32_e32 v26, -8, v24
.LBB1_333:                              ;   in Loop: Header=BB1_285 Depth=1
	s_or_b64 exec, exec, s[4:5]
	v_cmp_gt_u32_e32 vcc, 8, v26
	s_and_saveexec_b64 s[4:5], vcc
	s_xor_b64 s[4:5], exec, s[4:5]
	s_cbranch_execz .LBB1_339
; %bb.334:                              ;   in Loop: Header=BB1_285 Depth=1
	v_mov_b32_e32 v24, 0
	v_mov_b32_e32 v25, 0
	v_cmp_ne_u32_e32 vcc, 0, v26
	s_and_saveexec_b64 s[14:15], vcc
	s_cbranch_execz .LBB1_338
; %bb.335:                              ;   in Loop: Header=BB1_285 Depth=1
	v_mov_b32_e32 v24, 0
	s_mov_b64 s[16:17], 0
	v_mov_b32_e32 v25, 0
	s_mov_b64 s[18:19], 0
.LBB1_336:                              ;   Parent Loop BB1_285 Depth=1
                                        ; =>  This Inner Loop Header: Depth=2
	global_load_ubyte v10, v[4:5], off
	v_mov_b32_e32 v11, s22
	v_add_co_u32_e32 v4, vcc, 1, v4
	v_add_u32_e32 v26, -1, v26
	v_addc_co_u32_e32 v5, vcc, 0, v5, vcc
	v_cmp_eq_u32_e32 vcc, 0, v26
	s_waitcnt vmcnt(0)
	v_and_b32_e32 v10, 0xffff, v10
	v_lshlrev_b64 v[10:11], s18, v[10:11]
	s_add_u32 s18, s18, 8
	s_addc_u32 s19, s19, 0
	v_or_b32_e32 v25, v11, v25
	s_or_b64 s[16:17], vcc, s[16:17]
	v_or_b32_e32 v24, v10, v24
	s_andn2_b64 exec, exec, s[16:17]
	s_cbranch_execnz .LBB1_336
; %bb.337:                              ;   in Loop: Header=BB1_285 Depth=1
	s_or_b64 exec, exec, s[16:17]
.LBB1_338:                              ;   in Loop: Header=BB1_285 Depth=1
	s_or_b64 exec, exec, s[14:15]
                                        ; implicit-def: $vgpr4_vgpr5
.LBB1_339:                              ;   in Loop: Header=BB1_285 Depth=1
	s_andn2_saveexec_b64 s[4:5], s[4:5]
	s_cbranch_execz .LBB1_341
; %bb.340:                              ;   in Loop: Header=BB1_285 Depth=1
	global_load_dwordx2 v[24:25], v[4:5], off
.LBB1_341:                              ;   in Loop: Header=BB1_285 Depth=1
	s_or_b64 exec, exec, s[4:5]
	v_readfirstlane_b32 s4, v38
	v_mov_b32_e32 v4, 0
	v_mov_b32_e32 v5, 0
	v_cmp_eq_u32_e64 s[4:5], s4, v38
	s_and_saveexec_b64 s[14:15], s[4:5]
	s_cbranch_execz .LBB1_347
; %bb.342:                              ;   in Loop: Header=BB1_285 Depth=1
	global_load_dwordx2 v[28:29], v33, s[10:11] offset:24 glc
	s_waitcnt vmcnt(0)
	buffer_wbinvl1_vol
	global_load_dwordx2 v[4:5], v33, s[10:11] offset:40
	global_load_dwordx2 v[10:11], v33, s[10:11]
	s_waitcnt vmcnt(1)
	v_and_b32_e32 v4, v4, v28
	v_and_b32_e32 v5, v5, v29
	v_mul_lo_u32 v5, v5, 24
	v_mul_hi_u32 v26, v4, 24
	v_mul_lo_u32 v4, v4, 24
	v_add_u32_e32 v5, v26, v5
	s_waitcnt vmcnt(0)
	v_add_co_u32_e32 v4, vcc, v10, v4
	v_addc_co_u32_e32 v5, vcc, v11, v5, vcc
	global_load_dwordx2 v[26:27], v[4:5], off glc
	s_waitcnt vmcnt(0)
	global_atomic_cmpswap_x2 v[4:5], v33, v[26:29], s[10:11] offset:24 glc
	s_waitcnt vmcnt(0)
	buffer_wbinvl1_vol
	v_cmp_ne_u64_e32 vcc, v[4:5], v[28:29]
	s_and_saveexec_b64 s[16:17], vcc
	s_cbranch_execz .LBB1_346
; %bb.343:                              ;   in Loop: Header=BB1_285 Depth=1
	s_mov_b64 s[18:19], 0
.LBB1_344:                              ;   Parent Loop BB1_285 Depth=1
                                        ; =>  This Inner Loop Header: Depth=2
	s_sleep 1
	global_load_dwordx2 v[10:11], v33, s[10:11] offset:40
	global_load_dwordx2 v[26:27], v33, s[10:11]
	v_mov_b32_e32 v29, v5
	v_mov_b32_e32 v28, v4
	s_waitcnt vmcnt(1)
	v_and_b32_e32 v4, v10, v28
	s_waitcnt vmcnt(0)
	v_mad_u64_u32 v[4:5], s[20:21], v4, 24, v[26:27]
	v_and_b32_e32 v10, v11, v29
	v_mad_u64_u32 v[10:11], s[20:21], v10, 24, v[5:6]
	v_mov_b32_e32 v5, v10
	global_load_dwordx2 v[26:27], v[4:5], off glc
	s_waitcnt vmcnt(0)
	global_atomic_cmpswap_x2 v[4:5], v33, v[26:29], s[10:11] offset:24 glc
	s_waitcnt vmcnt(0)
	buffer_wbinvl1_vol
	v_cmp_eq_u64_e32 vcc, v[4:5], v[28:29]
	s_or_b64 s[18:19], vcc, s[18:19]
	s_andn2_b64 exec, exec, s[18:19]
	s_cbranch_execnz .LBB1_344
; %bb.345:                              ;   in Loop: Header=BB1_285 Depth=1
	s_or_b64 exec, exec, s[18:19]
.LBB1_346:                              ;   in Loop: Header=BB1_285 Depth=1
	s_or_b64 exec, exec, s[16:17]
.LBB1_347:                              ;   in Loop: Header=BB1_285 Depth=1
	s_or_b64 exec, exec, s[14:15]
	global_load_dwordx2 v[10:11], v33, s[10:11] offset:40
	global_load_dwordx4 v[26:29], v33, s[10:11]
	v_readfirstlane_b32 s15, v5
	v_readfirstlane_b32 s14, v4
	s_mov_b64 s[16:17], exec
	s_waitcnt vmcnt(1)
	v_readfirstlane_b32 s18, v10
	v_readfirstlane_b32 s19, v11
	s_and_b64 s[18:19], s[18:19], s[14:15]
	s_mul_i32 s20, s19, 24
	s_mul_hi_u32 s21, s18, 24
	s_mul_i32 s24, s18, 24
	s_add_i32 s20, s21, s20
	v_mov_b32_e32 v5, s20
	s_waitcnt vmcnt(0)
	v_add_co_u32_e32 v4, vcc, s24, v26
	v_addc_co_u32_e32 v5, vcc, v27, v5, vcc
	s_and_saveexec_b64 s[20:21], s[4:5]
	s_cbranch_execz .LBB1_349
; %bb.348:                              ;   in Loop: Header=BB1_285 Depth=1
	v_mov_b32_e32 v10, s16
	v_mov_b32_e32 v11, s17
	global_store_dwordx4 v[4:5], v[10:13], off offset:8
.LBB1_349:                              ;   in Loop: Header=BB1_285 Depth=1
	s_or_b64 exec, exec, s[20:21]
	s_lshl_b64 s[16:17], s[18:19], 12
	v_mov_b32_e32 v10, s17
	v_add_co_u32_e32 v28, vcc, s16, v28
	v_addc_co_u32_e32 v29, vcc, v29, v10, vcc
	v_cmp_gt_u64_e32 vcc, 57, v[30:31]
	v_and_b32_e32 v0, 0xffffff1f, v0
	v_cndmask_b32_e32 v10, 0, v36, vcc
	v_lshl_add_u32 v11, v34, 2, 28
	v_or_b32_e32 v0, v0, v10
	v_and_or_b32 v0, v11, s23, v0
	v_readfirstlane_b32 s16, v28
	v_readfirstlane_b32 s17, v29
	s_nop 4
	global_store_dwordx4 v39, v[0:3], s[16:17]
	global_store_dwordx4 v39, v[14:17], s[16:17] offset:16
	global_store_dwordx4 v39, v[18:21], s[16:17] offset:32
	;; [unrolled: 1-line block ×3, first 2 shown]
	s_and_saveexec_b64 s[16:17], s[4:5]
	s_cbranch_execz .LBB1_357
; %bb.350:                              ;   in Loop: Header=BB1_285 Depth=1
	global_load_dwordx2 v[16:17], v33, s[10:11] offset:32 glc
	global_load_dwordx2 v[0:1], v33, s[10:11] offset:40
	v_mov_b32_e32 v14, s14
	v_mov_b32_e32 v15, s15
	s_waitcnt vmcnt(0)
	v_readfirstlane_b32 s18, v0
	v_readfirstlane_b32 s19, v1
	s_and_b64 s[18:19], s[18:19], s[14:15]
	s_mul_i32 s19, s19, 24
	s_mul_hi_u32 s20, s18, 24
	s_mul_i32 s18, s18, 24
	s_add_i32 s19, s20, s19
	v_mov_b32_e32 v0, s19
	v_add_co_u32_e32 v10, vcc, s18, v26
	v_addc_co_u32_e32 v11, vcc, v27, v0, vcc
	global_store_dwordx2 v[10:11], v[16:17], off
	s_waitcnt vmcnt(0)
	global_atomic_cmpswap_x2 v[2:3], v33, v[14:17], s[10:11] offset:32 glc
	s_waitcnt vmcnt(0)
	v_cmp_ne_u64_e32 vcc, v[2:3], v[16:17]
	s_and_saveexec_b64 s[18:19], vcc
	s_cbranch_execz .LBB1_353
; %bb.351:                              ;   in Loop: Header=BB1_285 Depth=1
	s_mov_b64 s[20:21], 0
.LBB1_352:                              ;   Parent Loop BB1_285 Depth=1
                                        ; =>  This Inner Loop Header: Depth=2
	s_sleep 1
	global_store_dwordx2 v[10:11], v[2:3], off
	v_mov_b32_e32 v0, s14
	v_mov_b32_e32 v1, s15
	s_waitcnt vmcnt(0)
	global_atomic_cmpswap_x2 v[0:1], v33, v[0:3], s[10:11] offset:32 glc
	s_waitcnt vmcnt(0)
	v_cmp_eq_u64_e32 vcc, v[0:1], v[2:3]
	v_mov_b32_e32 v3, v1
	s_or_b64 s[20:21], vcc, s[20:21]
	v_mov_b32_e32 v2, v0
	s_andn2_b64 exec, exec, s[20:21]
	s_cbranch_execnz .LBB1_352
.LBB1_353:                              ;   in Loop: Header=BB1_285 Depth=1
	s_or_b64 exec, exec, s[18:19]
	global_load_dwordx2 v[0:1], v33, s[10:11] offset:16
	s_mov_b64 s[20:21], exec
	v_mbcnt_lo_u32_b32 v2, s20, 0
	v_mbcnt_hi_u32_b32 v2, s21, v2
	v_cmp_eq_u32_e32 vcc, 0, v2
	s_and_saveexec_b64 s[18:19], vcc
	s_cbranch_execz .LBB1_355
; %bb.354:                              ;   in Loop: Header=BB1_285 Depth=1
	s_bcnt1_i32_b64 s20, s[20:21]
	v_mov_b32_e32 v32, s20
	s_waitcnt vmcnt(0)
	global_atomic_add_x2 v[0:1], v[32:33], off offset:8
.LBB1_355:                              ;   in Loop: Header=BB1_285 Depth=1
	s_or_b64 exec, exec, s[18:19]
	s_waitcnt vmcnt(0)
	global_load_dwordx2 v[2:3], v[0:1], off offset:16
	s_waitcnt vmcnt(0)
	v_cmp_eq_u64_e32 vcc, 0, v[2:3]
	s_cbranch_vccnz .LBB1_357
; %bb.356:                              ;   in Loop: Header=BB1_285 Depth=1
	global_load_dword v32, v[0:1], off offset:24
	s_waitcnt vmcnt(0)
	v_readfirstlane_b32 s18, v32
	s_and_b32 m0, s18, 0xffffff
	global_store_dwordx2 v[2:3], v[32:33], off
	s_sendmsg sendmsg(MSG_INTERRUPT)
.LBB1_357:                              ;   in Loop: Header=BB1_285 Depth=1
	s_or_b64 exec, exec, s[16:17]
	v_add_co_u32_e32 v0, vcc, v28, v39
	v_addc_co_u32_e32 v1, vcc, 0, v29, vcc
	s_branch .LBB1_361
.LBB1_358:                              ;   in Loop: Header=BB1_361 Depth=2
	s_or_b64 exec, exec, s[16:17]
	v_readfirstlane_b32 s16, v2
	s_cmp_eq_u32 s16, 0
	s_cbranch_scc1 .LBB1_360
; %bb.359:                              ;   in Loop: Header=BB1_361 Depth=2
	s_sleep 1
	s_cbranch_execnz .LBB1_361
	s_branch .LBB1_363
.LBB1_360:                              ;   in Loop: Header=BB1_285 Depth=1
	s_branch .LBB1_363
.LBB1_361:                              ;   Parent Loop BB1_285 Depth=1
                                        ; =>  This Inner Loop Header: Depth=2
	v_mov_b32_e32 v2, 1
	s_and_saveexec_b64 s[16:17], s[4:5]
	s_cbranch_execz .LBB1_358
; %bb.362:                              ;   in Loop: Header=BB1_361 Depth=2
	global_load_dword v2, v[4:5], off offset:20 glc
	s_waitcnt vmcnt(0)
	buffer_wbinvl1_vol
	v_and_b32_e32 v2, 1, v2
	s_branch .LBB1_358
.LBB1_363:                              ;   in Loop: Header=BB1_285 Depth=1
	global_load_dwordx2 v[0:1], v[0:1], off
	s_and_saveexec_b64 s[16:17], s[4:5]
	s_cbranch_execz .LBB1_284
; %bb.364:                              ;   in Loop: Header=BB1_285 Depth=1
	global_load_dwordx2 v[2:3], v33, s[10:11] offset:40
	global_load_dwordx2 v[16:17], v33, s[10:11] offset:24 glc
	global_load_dwordx2 v[4:5], v33, s[10:11]
	s_waitcnt vmcnt(2)
	v_readfirstlane_b32 s18, v2
	v_readfirstlane_b32 s19, v3
	s_add_u32 s20, s18, 1
	s_addc_u32 s21, s19, 0
	s_add_u32 s4, s20, s14
	s_addc_u32 s5, s21, s15
	s_cmp_eq_u64 s[4:5], 0
	s_cselect_b32 s5, s21, s5
	s_cselect_b32 s4, s20, s4
	s_and_b64 s[14:15], s[4:5], s[18:19]
	s_mul_i32 s15, s15, 24
	s_mul_hi_u32 s18, s14, 24
	s_mul_i32 s14, s14, 24
	s_add_i32 s15, s18, s15
	v_mov_b32_e32 v2, s15
	s_waitcnt vmcnt(0)
	v_add_co_u32_e32 v10, vcc, s14, v4
	v_addc_co_u32_e32 v11, vcc, v5, v2, vcc
	v_mov_b32_e32 v14, s4
	global_store_dwordx2 v[10:11], v[16:17], off
	v_mov_b32_e32 v15, s5
	s_waitcnt vmcnt(0)
	global_atomic_cmpswap_x2 v[4:5], v33, v[14:17], s[10:11] offset:24 glc
	s_waitcnt vmcnt(0)
	v_cmp_ne_u64_e32 vcc, v[4:5], v[16:17]
	s_and_b64 exec, exec, vcc
	s_cbranch_execz .LBB1_284
; %bb.365:                              ;   in Loop: Header=BB1_285 Depth=1
	s_mov_b64 s[14:15], 0
.LBB1_366:                              ;   Parent Loop BB1_285 Depth=1
                                        ; =>  This Inner Loop Header: Depth=2
	s_sleep 1
	global_store_dwordx2 v[10:11], v[4:5], off
	v_mov_b32_e32 v2, s4
	v_mov_b32_e32 v3, s5
	s_waitcnt vmcnt(0)
	global_atomic_cmpswap_x2 v[2:3], v33, v[2:5], s[10:11] offset:24 glc
	s_waitcnt vmcnt(0)
	v_cmp_eq_u64_e32 vcc, v[2:3], v[4:5]
	v_mov_b32_e32 v5, v3
	s_or_b64 s[14:15], vcc, s[14:15]
	v_mov_b32_e32 v4, v2
	s_andn2_b64 exec, exec, s[14:15]
	s_cbranch_execnz .LBB1_366
	s_branch .LBB1_284
.LBB1_367:
	s_or_b64 exec, exec, s[12:13]
                                        ; implicit-def: $vgpr39
                                        ; implicit-def: $vgpr38
.LBB1_368:
	s_andn2_saveexec_b64 s[6:7], s[6:7]
	s_cbranch_execz .LBB1_395
; %bb.369:
	v_readfirstlane_b32 s4, v38
	v_mov_b32_e32 v10, 0
	v_mov_b32_e32 v11, 0
	v_cmp_eq_u32_e64 s[4:5], s4, v38
	s_and_saveexec_b64 s[12:13], s[4:5]
	s_cbranch_execz .LBB1_375
; %bb.370:
	v_mov_b32_e32 v2, 0
	global_load_dwordx2 v[5:6], v2, s[10:11] offset:24 glc
	s_waitcnt vmcnt(0)
	buffer_wbinvl1_vol
	global_load_dwordx2 v[3:4], v2, s[10:11] offset:40
	global_load_dwordx2 v[10:11], v2, s[10:11]
	s_waitcnt vmcnt(1)
	v_and_b32_e32 v3, v3, v5
	v_and_b32_e32 v4, v4, v6
	v_mul_lo_u32 v4, v4, 24
	v_mul_hi_u32 v7, v3, 24
	v_mul_lo_u32 v3, v3, 24
	v_add_u32_e32 v4, v7, v4
	s_waitcnt vmcnt(0)
	v_add_co_u32_e32 v3, vcc, v10, v3
	v_addc_co_u32_e32 v4, vcc, v11, v4, vcc
	global_load_dwordx2 v[3:4], v[3:4], off glc
	s_waitcnt vmcnt(0)
	global_atomic_cmpswap_x2 v[10:11], v2, v[3:6], s[10:11] offset:24 glc
	s_waitcnt vmcnt(0)
	buffer_wbinvl1_vol
	v_cmp_ne_u64_e32 vcc, v[10:11], v[5:6]
	s_and_saveexec_b64 s[14:15], vcc
	s_cbranch_execz .LBB1_374
; %bb.371:
	s_mov_b64 s[16:17], 0
.LBB1_372:                              ; =>This Inner Loop Header: Depth=1
	s_sleep 1
	global_load_dwordx2 v[3:4], v2, s[10:11] offset:40
	global_load_dwordx2 v[12:13], v2, s[10:11]
	v_mov_b32_e32 v5, v10
	v_mov_b32_e32 v6, v11
	s_waitcnt vmcnt(1)
	v_and_b32_e32 v3, v3, v5
	s_waitcnt vmcnt(0)
	v_mad_u64_u32 v[10:11], s[18:19], v3, 24, v[12:13]
	v_and_b32_e32 v4, v4, v6
	v_mov_b32_e32 v3, v11
	v_mad_u64_u32 v[3:4], s[18:19], v4, 24, v[3:4]
	v_mov_b32_e32 v11, v3
	global_load_dwordx2 v[3:4], v[10:11], off glc
	s_waitcnt vmcnt(0)
	global_atomic_cmpswap_x2 v[10:11], v2, v[3:6], s[10:11] offset:24 glc
	s_waitcnt vmcnt(0)
	buffer_wbinvl1_vol
	v_cmp_eq_u64_e32 vcc, v[10:11], v[5:6]
	s_or_b64 s[16:17], vcc, s[16:17]
	s_andn2_b64 exec, exec, s[16:17]
	s_cbranch_execnz .LBB1_372
; %bb.373:
	s_or_b64 exec, exec, s[16:17]
.LBB1_374:
	s_or_b64 exec, exec, s[14:15]
.LBB1_375:
	s_or_b64 exec, exec, s[12:13]
	v_mov_b32_e32 v2, 0
	global_load_dwordx2 v[12:13], v2, s[10:11] offset:40
	global_load_dwordx4 v[4:7], v2, s[10:11]
	v_readfirstlane_b32 s13, v11
	v_readfirstlane_b32 s12, v10
	s_mov_b64 s[14:15], exec
	s_waitcnt vmcnt(1)
	v_readfirstlane_b32 s16, v12
	v_readfirstlane_b32 s17, v13
	s_and_b64 s[16:17], s[16:17], s[12:13]
	s_mul_i32 s18, s17, 24
	s_mul_hi_u32 s19, s16, 24
	s_mul_i32 s20, s16, 24
	s_add_i32 s18, s19, s18
	v_mov_b32_e32 v3, s18
	s_waitcnt vmcnt(0)
	v_add_co_u32_e32 v10, vcc, s20, v4
	v_addc_co_u32_e32 v11, vcc, v5, v3, vcc
	s_and_saveexec_b64 s[18:19], s[4:5]
	s_cbranch_execz .LBB1_377
; %bb.376:
	v_mov_b32_e32 v12, s14
	v_mov_b32_e32 v13, s15
	v_mov_b32_e32 v14, 2
	v_mov_b32_e32 v15, 1
	global_store_dwordx4 v[10:11], v[12:15], off offset:8
.LBB1_377:
	s_or_b64 exec, exec, s[18:19]
	s_lshl_b64 s[14:15], s[16:17], 12
	v_mov_b32_e32 v3, s15
	v_add_co_u32_e32 v12, vcc, s14, v6
	v_addc_co_u32_e32 v13, vcc, v7, v3, vcc
	s_movk_i32 s14, 0xff1f
	v_and_or_b32 v0, v0, s14, 32
	s_mov_b32 s16, 0
	v_mov_b32_e32 v3, v2
	v_readfirstlane_b32 s14, v12
	v_readfirstlane_b32 s15, v13
	v_add_co_u32_e32 v6, vcc, v12, v39
	s_mov_b32 s17, s16
	s_mov_b32 s18, s16
	;; [unrolled: 1-line block ×3, first 2 shown]
	s_nop 0
	global_store_dwordx4 v39, v[0:3], s[14:15]
	v_addc_co_u32_e32 v7, vcc, 0, v13, vcc
	v_mov_b32_e32 v0, s16
	v_mov_b32_e32 v1, s17
	;; [unrolled: 1-line block ×4, first 2 shown]
	global_store_dwordx4 v39, v[0:3], s[14:15] offset:16
	global_store_dwordx4 v39, v[0:3], s[14:15] offset:32
	;; [unrolled: 1-line block ×3, first 2 shown]
	s_and_saveexec_b64 s[14:15], s[4:5]
	s_cbranch_execz .LBB1_385
; %bb.378:
	v_mov_b32_e32 v12, 0
	global_load_dwordx2 v[15:16], v12, s[10:11] offset:32 glc
	global_load_dwordx2 v[0:1], v12, s[10:11] offset:40
	v_mov_b32_e32 v13, s12
	v_mov_b32_e32 v14, s13
	s_waitcnt vmcnt(0)
	v_readfirstlane_b32 s16, v0
	v_readfirstlane_b32 s17, v1
	s_and_b64 s[16:17], s[16:17], s[12:13]
	s_mul_i32 s17, s17, 24
	s_mul_hi_u32 s18, s16, 24
	s_mul_i32 s16, s16, 24
	s_add_i32 s17, s18, s17
	v_mov_b32_e32 v0, s17
	v_add_co_u32_e32 v4, vcc, s16, v4
	v_addc_co_u32_e32 v5, vcc, v5, v0, vcc
	global_store_dwordx2 v[4:5], v[15:16], off
	s_waitcnt vmcnt(0)
	global_atomic_cmpswap_x2 v[2:3], v12, v[13:16], s[10:11] offset:32 glc
	s_waitcnt vmcnt(0)
	v_cmp_ne_u64_e32 vcc, v[2:3], v[15:16]
	s_and_saveexec_b64 s[16:17], vcc
	s_cbranch_execz .LBB1_381
; %bb.379:
	s_mov_b64 s[18:19], 0
.LBB1_380:                              ; =>This Inner Loop Header: Depth=1
	s_sleep 1
	global_store_dwordx2 v[4:5], v[2:3], off
	v_mov_b32_e32 v0, s12
	v_mov_b32_e32 v1, s13
	s_waitcnt vmcnt(0)
	global_atomic_cmpswap_x2 v[0:1], v12, v[0:3], s[10:11] offset:32 glc
	s_waitcnt vmcnt(0)
	v_cmp_eq_u64_e32 vcc, v[0:1], v[2:3]
	v_mov_b32_e32 v3, v1
	s_or_b64 s[18:19], vcc, s[18:19]
	v_mov_b32_e32 v2, v0
	s_andn2_b64 exec, exec, s[18:19]
	s_cbranch_execnz .LBB1_380
.LBB1_381:
	s_or_b64 exec, exec, s[16:17]
	v_mov_b32_e32 v3, 0
	global_load_dwordx2 v[0:1], v3, s[10:11] offset:16
	s_mov_b64 s[16:17], exec
	v_mbcnt_lo_u32_b32 v2, s16, 0
	v_mbcnt_hi_u32_b32 v2, s17, v2
	v_cmp_eq_u32_e32 vcc, 0, v2
	s_and_saveexec_b64 s[18:19], vcc
	s_cbranch_execz .LBB1_383
; %bb.382:
	s_bcnt1_i32_b64 s16, s[16:17]
	v_mov_b32_e32 v2, s16
	s_waitcnt vmcnt(0)
	global_atomic_add_x2 v[0:1], v[2:3], off offset:8
.LBB1_383:
	s_or_b64 exec, exec, s[18:19]
	s_waitcnt vmcnt(0)
	global_load_dwordx2 v[2:3], v[0:1], off offset:16
	s_waitcnt vmcnt(0)
	v_cmp_eq_u64_e32 vcc, 0, v[2:3]
	s_cbranch_vccnz .LBB1_385
; %bb.384:
	global_load_dword v0, v[0:1], off offset:24
	v_mov_b32_e32 v1, 0
	s_waitcnt vmcnt(0)
	v_readfirstlane_b32 s16, v0
	s_and_b32 m0, s16, 0xffffff
	global_store_dwordx2 v[2:3], v[0:1], off
	s_sendmsg sendmsg(MSG_INTERRUPT)
.LBB1_385:
	s_or_b64 exec, exec, s[14:15]
	s_branch .LBB1_389
.LBB1_386:                              ;   in Loop: Header=BB1_389 Depth=1
	s_or_b64 exec, exec, s[14:15]
	v_readfirstlane_b32 s14, v0
	s_cmp_eq_u32 s14, 0
	s_cbranch_scc1 .LBB1_388
; %bb.387:                              ;   in Loop: Header=BB1_389 Depth=1
	s_sleep 1
	s_cbranch_execnz .LBB1_389
	s_branch .LBB1_391
.LBB1_388:
	s_branch .LBB1_391
.LBB1_389:                              ; =>This Inner Loop Header: Depth=1
	v_mov_b32_e32 v0, 1
	s_and_saveexec_b64 s[14:15], s[4:5]
	s_cbranch_execz .LBB1_386
; %bb.390:                              ;   in Loop: Header=BB1_389 Depth=1
	global_load_dword v0, v[10:11], off offset:20 glc
	s_waitcnt vmcnt(0)
	buffer_wbinvl1_vol
	v_and_b32_e32 v0, 1, v0
	s_branch .LBB1_386
.LBB1_391:
	global_load_dwordx2 v[0:1], v[6:7], off
	s_and_saveexec_b64 s[14:15], s[4:5]
	s_cbranch_execz .LBB1_394
; %bb.392:
	v_mov_b32_e32 v10, 0
	global_load_dwordx2 v[2:3], v10, s[10:11] offset:40
	global_load_dwordx2 v[13:14], v10, s[10:11] offset:24 glc
	global_load_dwordx2 v[4:5], v10, s[10:11]
	s_waitcnt vmcnt(2)
	v_readfirstlane_b32 s16, v2
	v_readfirstlane_b32 s17, v3
	s_add_u32 s18, s16, 1
	s_addc_u32 s19, s17, 0
	s_add_u32 s4, s18, s12
	s_addc_u32 s5, s19, s13
	s_cmp_eq_u64 s[4:5], 0
	s_cselect_b32 s5, s19, s5
	s_cselect_b32 s4, s18, s4
	s_and_b64 s[12:13], s[4:5], s[16:17]
	s_mul_i32 s13, s13, 24
	s_mul_hi_u32 s16, s12, 24
	s_mul_i32 s12, s12, 24
	s_add_i32 s13, s16, s13
	v_mov_b32_e32 v2, s13
	s_waitcnt vmcnt(0)
	v_add_co_u32_e32 v6, vcc, s12, v4
	v_addc_co_u32_e32 v7, vcc, v5, v2, vcc
	v_mov_b32_e32 v11, s4
	global_store_dwordx2 v[6:7], v[13:14], off
	v_mov_b32_e32 v12, s5
	s_waitcnt vmcnt(0)
	global_atomic_cmpswap_x2 v[4:5], v10, v[11:14], s[10:11] offset:24 glc
	s_mov_b64 s[12:13], 0
	s_waitcnt vmcnt(0)
	v_cmp_ne_u64_e32 vcc, v[4:5], v[13:14]
	s_and_b64 exec, exec, vcc
	s_cbranch_execz .LBB1_394
.LBB1_393:                              ; =>This Inner Loop Header: Depth=1
	s_sleep 1
	global_store_dwordx2 v[6:7], v[4:5], off
	v_mov_b32_e32 v2, s4
	v_mov_b32_e32 v3, s5
	s_waitcnt vmcnt(0)
	global_atomic_cmpswap_x2 v[2:3], v10, v[2:5], s[10:11] offset:24 glc
	s_waitcnt vmcnt(0)
	v_cmp_eq_u64_e32 vcc, v[2:3], v[4:5]
	v_mov_b32_e32 v5, v3
	s_or_b64 s[12:13], vcc, s[12:13]
	v_mov_b32_e32 v4, v2
	s_andn2_b64 exec, exec, s[12:13]
	s_cbranch_execnz .LBB1_393
.LBB1_394:
	s_or_b64 exec, exec, s[14:15]
.LBB1_395:
	s_or_b64 exec, exec, s[6:7]
	v_mov_b32_e32 v2, v8
	s_mov_b64 s[4:5], 0
	v_mov_b32_e32 v3, v9
.LBB1_396:                              ; =>This Inner Loop Header: Depth=1
	global_load_ubyte v6, v[2:3], off
	v_add_co_u32_e32 v4, vcc, 1, v2
	v_addc_co_u32_e32 v5, vcc, 0, v3, vcc
	v_mov_b32_e32 v2, v4
	v_mov_b32_e32 v3, v5
	s_waitcnt vmcnt(0)
	v_cmp_eq_u16_e32 vcc, 0, v6
	s_or_b64 s[4:5], vcc, s[4:5]
	s_andn2_b64 exec, exec, s[4:5]
	s_cbranch_execnz .LBB1_396
; %bb.397:
	s_or_b64 exec, exec, s[4:5]
	v_sub_u32_e32 v4, v4, v8
	v_ashrrev_i32_e32 v5, 31, v4
	s_getpc_b64 s[4:5]
	s_add_u32 s4, s4, __ockl_fprintf_append_string_n@rel32@lo+4
	s_addc_u32 s5, s5, __ockl_fprintf_append_string_n@rel32@hi+12
	v_mov_b32_e32 v2, v8
	v_mov_b32_e32 v3, v9
	v_mov_b32_e32 v6, 1
	s_swappc_b64 s[30:31], s[4:5]
	s_trap 2
.Lfunc_end1:
	.size	__assert_fail, .Lfunc_end1-__assert_fail
                                        ; -- End function
	.set .L__assert_fail.num_vgpr, max(51, .L__ockl_fprintf_append_string_n.num_vgpr)
	.set .L__assert_fail.num_agpr, max(0, .L__ockl_fprintf_append_string_n.num_agpr)
	.set .L__assert_fail.numbered_sgpr, max(34, .L__ockl_fprintf_append_string_n.numbered_sgpr)
	.set .L__assert_fail.num_named_barrier, max(0, .L__ockl_fprintf_append_string_n.num_named_barrier)
	.set .L__assert_fail.private_seg_size, 64+max(.L__ockl_fprintf_append_string_n.private_seg_size)
	.set .L__assert_fail.uses_vcc, or(1, .L__ockl_fprintf_append_string_n.uses_vcc)
	.set .L__assert_fail.uses_flat_scratch, or(0, .L__ockl_fprintf_append_string_n.uses_flat_scratch)
	.set .L__assert_fail.has_dyn_sized_stack, or(0, .L__ockl_fprintf_append_string_n.has_dyn_sized_stack)
	.set .L__assert_fail.has_recursion, or(0, .L__ockl_fprintf_append_string_n.has_recursion)
	.set .L__assert_fail.has_indirect_call, or(0, .L__ockl_fprintf_append_string_n.has_indirect_call)
	.section	.AMDGPU.csdata,"",@progbits
; Function info:
; codeLenInByte = 13872
; TotalNumSgprs: 38
; NumVgprs: 51
; ScratchSize: 64
; MemoryBound: 0
	.section	.text._ZN9rocsolver6v33100L18potf2_kernel_smallIfiiPfEEvbT0_T2_lS3_lPT1_,"axG",@progbits,_ZN9rocsolver6v33100L18potf2_kernel_smallIfiiPfEEvbT0_T2_lS3_lPT1_,comdat
	.globl	_ZN9rocsolver6v33100L18potf2_kernel_smallIfiiPfEEvbT0_T2_lS3_lPT1_ ; -- Begin function _ZN9rocsolver6v33100L18potf2_kernel_smallIfiiPfEEvbT0_T2_lS3_lPT1_
	.p2align	8
	.type	_ZN9rocsolver6v33100L18potf2_kernel_smallIfiiPfEEvbT0_T2_lS3_lPT1_,@function
_ZN9rocsolver6v33100L18potf2_kernel_smallIfiiPfEEvbT0_T2_lS3_lPT1_: ; @_ZN9rocsolver6v33100L18potf2_kernel_smallIfiiPfEEvbT0_T2_lS3_lPT1_
; %bb.0:
	s_load_dwordx2 s[28:29], s[4:5], 0x3c
	s_add_u32 flat_scratch_lo, s6, s10
	s_addc_u32 flat_scratch_hi, s7, 0
	s_add_u32 s0, s0, s10
	s_addc_u32 s1, s1, 0
	s_mov_b64 s[26:27], s[4:5]
	s_waitcnt lgkmcnt(0)
	s_and_b32 s4, s29, 0xffff
	s_mov_b32 s54, s9
	v_mov_b32_e32 v43, v2
	v_mov_b32_e32 v41, v1
	;; [unrolled: 1-line block ×3, first 2 shown]
	s_cmp_eq_u32 s4, 1
	s_mov_b32 s32, 0
	s_cbranch_scc1 .LBB2_2
; %bb.1:
	s_add_u32 s8, s26, 48
	s_addc_u32 s9, s27, 0
	s_getpc_b64 s[4:5]
	s_add_u32 s4, s4, .str@rel32@lo+4
	s_addc_u32 s5, s5, .str@rel32@hi+12
	s_getpc_b64 s[6:7]
	s_add_u32 s6, s6, __PRETTY_FUNCTION__._ZN9rocsolver6v33100L18potf2_kernel_smallIfiiPfEEvbT0_T2_lS3_lPT1_@rel32@lo+4
	s_addc_u32 s7, s7, __PRETTY_FUNCTION__._ZN9rocsolver6v33100L18potf2_kernel_smallIfiiPfEEvbT0_T2_lS3_lPT1_@rel32@hi+12
	s_getpc_b64 s[10:11]
	s_add_u32 s10, s10, __assert_fail@rel32@lo+4
	s_addc_u32 s11, s11, __assert_fail@rel32@hi+12
	v_mov_b32_e32 v0, s4
	v_mov_b32_e32 v1, s5
	;; [unrolled: 1-line block ×5, first 2 shown]
	s_swappc_b64 s[30:31], s[10:11]
	s_mov_b64 s[34:35], -1
	s_cbranch_execz .LBB2_3
	s_branch .LBB2_114
.LBB2_2:
	s_mov_b64 s[34:35], 0
.LBB2_3:
	s_load_dwordx4 s[36:39], s[26:27], 0x8
	s_waitcnt lgkmcnt(0)
	s_cmp_lg_u64 s[36:37], 0
	s_cbranch_scc0 .LBB2_9
; %bb.4:
	s_load_dwordx4 s[40:43], s[26:27], 0x20
	s_waitcnt lgkmcnt(0)
	s_cmp_lg_u64 s[42:43], 0
	s_cbranch_scc0 .LBB2_10
; %bb.5:
	s_cmp_lg_u64 s[36:37], 0
	s_mov_b64 s[6:7], 0
	s_cbranch_scc0 .LBB2_11
; %bb.6:
	s_mul_i32 s4, s41, s54
	s_mul_hi_u32 s5, s40, s54
	s_add_i32 s5, s5, s4
	s_mul_i32 s4, s40, s54
	s_lshl_b64 s[44:45], s[4:5], 2
	s_load_dwordx2 s[40:41], s[26:27], 0x0
	s_add_u32 s4, s36, s44
	s_addc_u32 s5, s37, s45
	s_lshl_b64 s[46:47], s[38:39], 2
	s_add_u32 s87, s4, s46
	s_addc_u32 s88, s5, s47
	s_load_dword s38, s[26:27], 0x18
	s_waitcnt lgkmcnt(0)
	s_bitcmp1_b32 s40, 0
	s_cselect_b64 s[8:9], -1, 0
	s_xor_b64 s[52:53], s[8:9], -1
	s_mov_b64 s[4:5], -1
	s_lshr_b32 s40, s28, 16
	s_and_b32 s86, s28, 0xffff
	v_cmp_gt_i32_e64 s[28:29], s41, v41
	s_and_b64 vcc, exec, s[52:53]
	s_barrier
	s_cbranch_vccnz .LBB2_12
; %bb.7:
	s_mov_b64 s[48:49], 0
	s_and_b64 vcc, exec, s[4:5]
	s_cbranch_vccnz .LBB2_39
.LBB2_8:
	s_and_saveexec_b64 s[50:51], s[6:7]
	s_cbranch_execnz .LBB2_52
	s_branch .LBB2_106
.LBB2_9:
	s_cbranch_execnz .LBB2_113
	s_branch .LBB2_114
.LBB2_10:
	s_cbranch_execnz .LBB2_111
	s_branch .LBB2_112
.LBB2_11:
	s_cbranch_execnz .LBB2_109
	s_branch .LBB2_110
.LBB2_12:
	s_mov_b64 s[6:7], -1
	s_and_saveexec_b64 s[48:49], s[28:29]
	s_cbranch_execz .LBB2_38
; %bb.13:
	s_lshl_b32 s4, s41, 1
	s_or_b32 s33, s4, 1
	v_add_u32_e32 v2, v41, v42
	v_lshl_add_u32 v3, v42, 2, 0
	s_lshl_b32 s39, s86, 2
	s_mov_b64 s[14:15], 0
	v_mov_b32_e32 v4, v41
                                        ; implicit-def: $sgpr12_sgpr13
                                        ; implicit-def: $sgpr10_sgpr11
                                        ; implicit-def: $sgpr8_sgpr9
                                        ; implicit-def: $sgpr16_sgpr17
	s_branch .LBB2_15
.LBB2_14:                               ;   in Loop: Header=BB2_15 Depth=1
	s_or_b64 exec, exec, s[22:23]
	s_xor_b64 s[6:7], s[20:21], -1
	s_xor_b64 s[18:19], s[18:19], -1
	s_and_b64 s[4:5], exec, s[4:5]
	s_or_b64 s[14:15], s[4:5], s[14:15]
	s_andn2_b64 s[4:5], s[8:9], exec
	s_and_b64 s[8:9], s[16:17], exec
	s_or_b64 s[8:9], s[4:5], s[8:9]
	s_andn2_b64 s[4:5], s[10:11], exec
	s_and_b64 s[6:7], s[6:7], exec
	;; [unrolled: 3-line block ×3, first 2 shown]
	s_or_b64 s[12:13], s[4:5], s[6:7]
	s_andn2_b64 exec, exec, s[14:15]
	s_cbranch_execz .LBB2_27
.LBB2_15:                               ; =>This Loop Header: Depth=1
                                        ;     Child Loop BB2_20 Depth 2
	v_add_u32_e32 v0, v4, v42
	v_cmp_gt_i32_e32 vcc, s41, v0
	s_mov_b64 s[6:7], -1
                                        ; implicit-def: $sgpr18_sgpr19
                                        ; implicit-def: $sgpr20_sgpr21
                                        ; implicit-def: $sgpr24_sgpr25
	s_and_saveexec_b64 s[22:23], vcc
	s_cbranch_execz .LBB2_25
; %bb.16:                               ;   in Loop: Header=BB2_15 Depth=1
	v_sub_u32_e32 v1, s33, v4
	v_mad_i64_i32 v[5:6], s[4:5], v4, s38, 0
	v_mul_lo_u32 v1, v1, v4
	v_mov_b32_e32 v8, s88
	v_lshlrev_b64 v[5:6], 2, v[5:6]
	v_cmp_lt_i32_e32 vcc, -1, v4
	v_lshrrev_b32_e32 v7, 31, v1
	v_add_co_u32_e64 v5, s[4:5], s87, v5
	v_add_lshl_u32 v1, v1, v7, 1
	v_addc_co_u32_e64 v6, s[4:5], v8, v6, s[4:5]
	v_and_b32_e32 v1, -4, v1
	v_cmp_ge_u32_e64 s[4:5], v2, v4
	v_add_u32_e32 v7, v3, v1
	s_mov_b64 s[30:31], 0
                                        ; implicit-def: $sgpr50_sgpr51
                                        ; implicit-def: $sgpr24_sgpr25
                                        ; implicit-def: $sgpr20_sgpr21
                                        ; implicit-def: $sgpr18_sgpr19
                                        ; implicit-def: $sgpr56_sgpr57
                                        ; implicit-def: $sgpr60_sgpr61
                                        ; implicit-def: $sgpr62_sgpr63
                                        ; implicit-def: $sgpr58_sgpr59
                                        ; implicit-def: $sgpr64_sgpr65
	s_branch .LBB2_20
.LBB2_17:                               ;   in Loop: Header=BB2_20 Depth=2
	s_or_b64 exec, exec, s[70:71]
	s_mov_b64 s[6:7], exec
	s_orn2_b64 s[74:75], s[72:73], exec
	s_xor_b64 s[72:73], exec, -1
	s_orn2_b64 s[70:71], s[76:77], exec
.LBB2_18:                               ;   in Loop: Header=BB2_20 Depth=2
	s_or_b64 exec, exec, s[68:69]
	s_andn2_b64 s[64:65], s[64:65], exec
	s_and_b64 s[68:69], s[74:75], exec
	s_andn2_b64 s[60:61], s[60:61], exec
	s_and_b64 s[6:7], s[6:7], exec
	s_or_b64 s[64:65], s[64:65], s[68:69]
	s_andn2_b64 s[62:63], s[62:63], exec
	s_and_b64 s[68:69], s[72:73], exec
	s_or_b64 s[60:61], s[60:61], s[6:7]
	s_andn2_b64 s[6:7], s[56:57], exec
	s_and_b64 s[56:57], s[70:71], exec
	s_andn2_b64 s[58:59], s[58:59], exec
	s_or_b64 s[62:63], s[62:63], s[68:69]
	s_or_b64 s[56:57], s[6:7], s[56:57]
.LBB2_19:                               ;   in Loop: Header=BB2_20 Depth=2
	s_or_b64 exec, exec, s[66:67]
	s_xor_b64 s[6:7], s[64:65], -1
	s_and_b64 s[66:67], exec, s[56:57]
	s_or_b64 s[30:31], s[66:67], s[30:31]
	s_andn2_b64 s[18:19], s[18:19], exec
	s_and_b64 s[66:67], s[58:59], exec
	s_or_b64 s[18:19], s[18:19], s[66:67]
	s_andn2_b64 s[20:21], s[20:21], exec
	s_and_b64 s[66:67], s[62:63], exec
	;; [unrolled: 3-line block ×3, first 2 shown]
	s_andn2_b64 s[50:51], s[50:51], exec
	s_and_b64 s[6:7], s[6:7], exec
	s_or_b64 s[24:25], s[24:25], s[66:67]
	s_or_b64 s[50:51], s[50:51], s[6:7]
	s_andn2_b64 exec, exec, s[30:31]
	s_cbranch_execz .LBB2_24
.LBB2_20:                               ;   Parent Loop BB2_15 Depth=1
                                        ; =>  This Inner Loop Header: Depth=2
	v_cmp_lt_i32_e64 s[6:7], -1, v0
	s_or_b64 s[64:65], s[64:65], exec
	s_or_b64 s[58:59], s[58:59], exec
	s_andn2_b64 s[62:63], s[62:63], exec
	s_andn2_b64 s[60:61], s[60:61], exec
	s_or_b64 s[56:57], s[56:57], exec
	s_and_saveexec_b64 s[66:67], s[6:7]
	s_cbranch_execz .LBB2_19
; %bb.21:                               ;   in Loop: Header=BB2_20 Depth=2
	s_mov_b64 s[6:7], 0
	s_mov_b64 s[70:71], -1
	s_mov_b64 s[72:73], -1
	s_mov_b64 s[74:75], -1
	s_and_saveexec_b64 s[68:69], vcc
	s_cbranch_execz .LBB2_18
; %bb.22:                               ;   in Loop: Header=BB2_20 Depth=2
	s_mov_b64 s[76:77], -1
	s_and_saveexec_b64 s[70:71], s[4:5]
	s_cbranch_execz .LBB2_17
; %bb.23:                               ;   in Loop: Header=BB2_20 Depth=2
	v_ashrrev_i32_e32 v1, 31, v0
	v_lshlrev_b64 v[8:9], 2, v[0:1]
	v_add_u32_e32 v0, s86, v0
	v_add_co_u32_e64 v8, s[6:7], v5, v8
	v_addc_co_u32_e64 v9, s[6:7], v6, v9, s[6:7]
	global_load_dword v1, v[8:9], off
	v_cmp_le_i32_e64 s[6:7], s41, v0
	s_xor_b64 s[72:73], exec, -1
	s_orn2_b64 s[76:77], s[6:7], exec
	s_waitcnt vmcnt(0)
	ds_write_b32 v7, v1
	v_add_u32_e32 v7, s39, v7
	s_branch .LBB2_17
.LBB2_24:                               ;   in Loop: Header=BB2_15 Depth=1
	s_or_b64 exec, exec, s[30:31]
	s_orn2_b64 s[6:7], s[50:51], exec
.LBB2_25:                               ;   in Loop: Header=BB2_15 Depth=1
	s_or_b64 exec, exec, s[22:23]
	s_andn2_b64 s[16:17], s[16:17], exec
	s_and_b64 s[22:23], s[24:25], exec
	s_mov_b64 s[4:5], -1
	s_or_b64 s[16:17], s[16:17], s[22:23]
	s_and_saveexec_b64 s[22:23], s[6:7]
	s_cbranch_execz .LBB2_14
; %bb.26:                               ;   in Loop: Header=BB2_15 Depth=1
	v_add_u32_e32 v4, s40, v4
	v_cmp_le_i32_e32 vcc, s41, v4
	v_add_u32_e32 v2, s40, v2
	s_andn2_b64 s[16:17], s[16:17], exec
	s_andn2_b64 s[20:21], s[20:21], exec
	;; [unrolled: 1-line block ×3, first 2 shown]
	s_orn2_b64 s[4:5], vcc, exec
	s_branch .LBB2_14
.LBB2_27:
	s_or_b64 exec, exec, s[14:15]
	s_mov_b64 s[56:57], 0
	s_mov_b64 s[60:61], s[34:35]
	s_and_saveexec_b64 s[4:5], s[12:13]
	s_xor_b64 s[50:51], exec, s[4:5]
	s_cbranch_execz .LBB2_35
; %bb.28:
	s_mov_b64 s[58:59], 0
	s_mov_b64 s[60:61], s[34:35]
	s_and_saveexec_b64 s[4:5], s[10:11]
	s_xor_b64 s[56:57], exec, s[4:5]
	s_cbranch_execz .LBB2_32
; %bb.29:
	s_mov_b64 s[4:5], -1
	s_mov_b64 s[6:7], s[34:35]
	s_and_saveexec_b64 s[10:11], s[8:9]
	s_xor_b64 s[58:59], exec, s[10:11]
	s_cbranch_execz .LBB2_31
; %bb.30:
	s_add_u32 s8, s26, 48
	s_addc_u32 s9, s27, 0
	s_getpc_b64 s[4:5]
	s_add_u32 s4, s4, .str.10@rel32@lo+4
	s_addc_u32 s5, s5, .str.10@rel32@hi+12
	s_getpc_b64 s[6:7]
	s_add_u32 s6, s6, __PRETTY_FUNCTION__._ZN9rocsolver6v33100L9idx_lowerIiEET_S2_S2_S2_@rel32@lo+4
	s_addc_u32 s7, s7, __PRETTY_FUNCTION__._ZN9rocsolver6v33100L9idx_lowerIiEET_S2_S2_S2_@rel32@hi+12
	s_getpc_b64 s[10:11]
	s_add_u32 s10, s10, __assert_fail@rel32@lo+4
	s_addc_u32 s11, s11, __assert_fail@rel32@hi+12
	v_mov_b32_e32 v0, s4
	v_mov_b32_e32 v1, s5
	;; [unrolled: 1-line block ×5, first 2 shown]
	s_swappc_b64 s[30:31], s[10:11]
	s_or_b64 s[6:7], s[34:35], exec
	s_xor_b64 s[4:5], exec, -1
.LBB2_31:
	s_or_b64 exec, exec, s[58:59]
	s_andn2_b64 s[8:9], s[34:35], exec
	s_and_b64 s[6:7], s[6:7], exec
	s_or_b64 s[60:61], s[8:9], s[6:7]
	s_and_b64 s[58:59], s[4:5], exec
.LBB2_32:
	s_andn2_saveexec_b64 s[56:57], s[56:57]
	s_cbranch_execz .LBB2_34
; %bb.33:
	s_add_u32 s8, s26, 48
	s_addc_u32 s9, s27, 0
	s_getpc_b64 s[4:5]
	s_add_u32 s4, s4, .str.9@rel32@lo+4
	s_addc_u32 s5, s5, .str.9@rel32@hi+12
	s_getpc_b64 s[6:7]
	s_add_u32 s6, s6, __PRETTY_FUNCTION__._ZN9rocsolver6v33100L9idx_lowerIiEET_S2_S2_S2_@rel32@lo+4
	s_addc_u32 s7, s7, __PRETTY_FUNCTION__._ZN9rocsolver6v33100L9idx_lowerIiEET_S2_S2_S2_@rel32@hi+12
	s_getpc_b64 s[10:11]
	s_add_u32 s10, s10, __assert_fail@rel32@lo+4
	s_addc_u32 s11, s11, __assert_fail@rel32@hi+12
	v_mov_b32_e32 v0, s4
	v_mov_b32_e32 v1, s5
	;; [unrolled: 1-line block ×5, first 2 shown]
	s_swappc_b64 s[30:31], s[10:11]
	s_or_b64 s[60:61], s[60:61], exec
.LBB2_34:
	s_or_b64 exec, exec, s[56:57]
	s_andn2_b64 s[4:5], s[34:35], exec
	s_and_b64 s[6:7], s[60:61], exec
	s_or_b64 s[60:61], s[4:5], s[6:7]
	s_and_b64 s[56:57], s[58:59], exec
.LBB2_35:
	s_andn2_saveexec_b64 s[50:51], s[50:51]
	s_cbranch_execz .LBB2_37
; %bb.36:
	s_add_u32 s8, s26, 48
	s_addc_u32 s9, s27, 0
	s_getpc_b64 s[4:5]
	s_add_u32 s4, s4, .str.8@rel32@lo+4
	s_addc_u32 s5, s5, .str.8@rel32@hi+12
	s_getpc_b64 s[6:7]
	s_add_u32 s6, s6, __PRETTY_FUNCTION__._ZN9rocsolver6v33100L9idx_lowerIiEET_S2_S2_S2_@rel32@lo+4
	s_addc_u32 s7, s7, __PRETTY_FUNCTION__._ZN9rocsolver6v33100L9idx_lowerIiEET_S2_S2_S2_@rel32@hi+12
	s_getpc_b64 s[10:11]
	s_add_u32 s10, s10, __assert_fail@rel32@lo+4
	s_addc_u32 s11, s11, __assert_fail@rel32@hi+12
	v_mov_b32_e32 v0, s4
	v_mov_b32_e32 v1, s5
	v_mov_b32_e32 v2, 0x4f
	v_mov_b32_e32 v3, s6
	v_mov_b32_e32 v4, s7
	s_swappc_b64 s[30:31], s[10:11]
	s_or_b64 s[60:61], s[60:61], exec
.LBB2_37:
	s_or_b64 exec, exec, s[50:51]
	s_andn2_b64 s[4:5], s[34:35], exec
	s_and_b64 s[6:7], s[60:61], exec
	s_or_b64 s[34:35], s[4:5], s[6:7]
	s_orn2_b64 s[6:7], s[56:57], exec
.LBB2_38:
	s_or_b64 exec, exec, s[48:49]
	s_mov_b64 s[48:49], 0
	s_branch .LBB2_8
.LBB2_39:
	s_mov_b64 s[6:7], -1
	s_and_saveexec_b64 s[4:5], s[28:29]
	s_cbranch_execz .LBB2_51
; %bb.40:
	v_lshlrev_b32_e32 v0, 2, v41
	v_lshlrev_b32_e32 v1, 2, v42
	s_lshl_b32 s25, s86, 2
	s_ashr_i32 s39, s38, 31
	s_lshl_b32 s6, s41, 1
	v_sub_u32_e32 v0, v0, v1
	s_lshl_b32 s24, s40, 2
	s_sub_i32 s30, 0, s25
	v_add_u32_e32 v4, 0, v0
	v_sub_u32_e32 v0, s6, v42
	s_add_u32 s6, s44, s46
	s_addc_u32 s7, s45, s47
	s_add_u32 s6, s36, s6
	s_addc_u32 s7, s37, s7
	v_add_u32_e32 v5, 1, v0
	v_mov_b32_e32 v2, s7
	v_add_co_u32_e32 v0, vcc, s6, v1
	v_addc_co_u32_e32 v1, vcc, 0, v2, vcc
	s_lshl_b64 s[6:7], s[38:39], 2
	s_mov_b64 s[8:9], 0
	v_mov_b32_e32 v6, v41
                                        ; implicit-def: $sgpr10_sgpr11
	s_branch .LBB2_42
.LBB2_41:                               ;   in Loop: Header=BB2_42 Depth=1
	s_or_b64 exec, exec, s[18:19]
	s_xor_b64 s[14:15], s[14:15], -1
	s_and_b64 s[12:13], exec, s[12:13]
	s_or_b64 s[8:9], s[12:13], s[8:9]
	s_andn2_b64 s[10:11], s[10:11], exec
	s_and_b64 s[12:13], s[14:15], exec
	s_or_b64 s[10:11], s[10:11], s[12:13]
	s_andn2_b64 exec, exec, s[8:9]
	s_cbranch_execz .LBB2_50
.LBB2_42:                               ; =>This Loop Header: Depth=1
                                        ;     Child Loop BB2_45 Depth 2
	v_cmp_le_i32_e32 vcc, v42, v6
	s_mov_b64 s[16:17], -1
	s_and_saveexec_b64 s[12:13], vcc
	s_cbranch_execz .LBB2_48
; %bb.43:                               ;   in Loop: Header=BB2_42 Depth=1
	v_mad_u64_u32 v[2:3], s[14:15], s6, v6, v[0:1]
	v_mov_b32_e32 v7, v5
	v_mov_b32_e32 v8, v4
	v_mad_u64_u32 v[9:10], s[14:15], s7, v6, v[3:4]
	s_mov_b64 s[14:15], 0
                                        ; implicit-def: $sgpr16_sgpr17
                                        ; implicit-def: $sgpr20_sgpr21
                                        ; implicit-def: $sgpr18_sgpr19
	v_mov_b32_e32 v3, v9
	v_mov_b32_e32 v9, v42
	s_branch .LBB2_45
.LBB2_44:                               ;   in Loop: Header=BB2_45 Depth=2
	s_or_b64 exec, exec, s[22:23]
	s_xor_b64 s[22:23], s[18:19], -1
	s_and_b64 s[48:49], exec, s[20:21]
	s_or_b64 s[14:15], s[48:49], s[14:15]
	s_andn2_b64 s[16:17], s[16:17], exec
	s_and_b64 s[22:23], s[22:23], exec
	s_or_b64 s[16:17], s[16:17], s[22:23]
	s_andn2_b64 exec, exec, s[14:15]
	s_cbranch_execz .LBB2_47
.LBB2_45:                               ;   Parent Loop BB2_42 Depth=1
                                        ; =>  This Inner Loop Header: Depth=2
	v_cmp_lt_i32_e32 vcc, -1, v9
	s_or_b64 s[18:19], s[18:19], exec
	s_or_b64 s[20:21], s[20:21], exec
	s_and_saveexec_b64 s[22:23], vcc
	s_cbranch_execz .LBB2_44
; %bb.46:                               ;   in Loop: Header=BB2_45 Depth=2
	global_load_dword v10, v[2:3], off
	v_mul_lo_u32 v11, v7, v9
	v_add_co_u32_e32 v2, vcc, s25, v2
	v_add_u32_e32 v9, s86, v9
	v_addc_co_u32_e32 v3, vcc, 0, v3, vcc
	v_lshrrev_b32_e32 v12, 31, v11
	v_cmp_gt_i32_e32 vcc, v9, v6
	v_add_lshl_u32 v11, v11, v12, 1
	s_andn2_b64 s[20:21], s[20:21], exec
	s_and_b64 s[48:49], vcc, exec
	v_and_b32_e32 v11, -4, v11
	v_subrev_u32_e32 v7, s86, v7
	s_andn2_b64 s[18:19], s[18:19], exec
	v_add_u32_e32 v11, v8, v11
	v_add_u32_e32 v8, s30, v8
	s_or_b64 s[20:21], s[20:21], s[48:49]
	s_waitcnt vmcnt(0)
	ds_write_b32 v11, v10
	s_branch .LBB2_44
.LBB2_47:                               ;   in Loop: Header=BB2_42 Depth=1
	s_or_b64 exec, exec, s[14:15]
	s_orn2_b64 s[16:17], s[16:17], exec
.LBB2_48:                               ;   in Loop: Header=BB2_42 Depth=1
	s_or_b64 exec, exec, s[12:13]
	s_mov_b64 s[12:13], -1
	s_mov_b64 s[14:15], -1
	s_and_saveexec_b64 s[18:19], s[16:17]
	s_cbranch_execz .LBB2_41
; %bb.49:                               ;   in Loop: Header=BB2_42 Depth=1
	v_add_u32_e32 v6, s40, v6
	v_cmp_le_i32_e32 vcc, s41, v6
	v_add_u32_e32 v4, s24, v4
	s_xor_b64 s[14:15], exec, -1
	s_orn2_b64 s[12:13], vcc, exec
	s_branch .LBB2_41
.LBB2_50:
	s_or_b64 exec, exec, s[8:9]
	s_mov_b64 s[48:49], exec
	s_orn2_b64 s[6:7], s[10:11], exec
.LBB2_51:
	s_or_b64 exec, exec, s[4:5]
	s_and_saveexec_b64 s[50:51], s[6:7]
	s_cbranch_execz .LBB2_106
.LBB2_52:
	s_cmp_gt_i32 s41, 0
	s_mov_b32 s33, 0
	s_waitcnt lgkmcnt(0)
	s_barrier
	s_cbranch_scc0 .LBB2_94
; %bb.53:
	s_mul_i32 s39, s40, s86
	v_mul_lo_u32 v0, s39, v43
	s_mov_b32 s55, 0
	s_lshl_b64 s[4:5], s[54:55], 2
	v_mul_u32_u24_e32 v1, s86, v41
	s_add_u32 s12, s42, s4
	v_add3_u32 v0, v1, v42, v0
	s_addc_u32 s13, s43, s5
	s_lshl_b32 s4, s41, 1
	v_lshlrev_b32_e32 v2, 2, v41
	s_or_b32 s70, s4, 1
	v_cmp_eq_u32_e64 s[4:5], 0, v0
	s_lshl_b32 s71, s39, 2
	v_lshl_add_u32 v1, v42, 2, 0
	s_lshl_b32 s72, s86, 2
	v_sub_u32_e32 v2, 0, v2
	s_lshl_b32 s73, s40, 2
	s_mov_b64 s[16:17], 0
	v_mov_b32_e32 v3, 0x180
	v_mov_b32_e32 v4, 0
	s_mov_b32 s74, 0xf800000
	v_mov_b32_e32 v5, 0x260
                                        ; implicit-def: $sgpr18_sgpr19
                                        ; implicit-def: $sgpr14_sgpr15
                                        ; implicit-def: $sgpr10_sgpr11
	s_branch .LBB2_55
.LBB2_54:                               ;   in Loop: Header=BB2_55 Depth=1
	s_or_b64 exec, exec, s[42:43]
	s_xor_b64 s[6:7], s[8:9], -1
	s_xor_b64 s[8:9], s[24:25], -1
	;; [unrolled: 1-line block ×3, first 2 shown]
	s_and_b64 s[22:23], exec, s[30:31]
	s_or_b64 s[16:17], s[22:23], s[16:17]
	s_andn2_b64 s[10:11], s[10:11], exec
	s_and_b64 s[6:7], s[6:7], exec
	s_or_b64 s[10:11], s[10:11], s[6:7]
	s_andn2_b64 s[6:7], s[14:15], exec
	s_and_b64 s[8:9], s[8:9], exec
	;; [unrolled: 3-line block ×3, first 2 shown]
	s_or_b64 s[18:19], s[6:7], s[8:9]
	s_andn2_b64 exec, exec, s[16:17]
	s_cbranch_execz .LBB2_89
.LBB2_55:                               ; =>This Loop Header: Depth=1
                                        ;     Child Loop BB2_67 Depth 2
                                        ;     Child Loop BB2_77 Depth 2
                                        ;       Child Loop BB2_81 Depth 3
	s_sub_i32 s6, s70, s33
	s_mul_i32 s6, s6, s33
	s_lshr_b32 s7, s6, 31
	s_add_i32 s6, s6, s7
	s_ashr_i32 s42, s6, 1
	s_lshl_b32 s75, s42, 2
	s_add_i32 s76, s75, 0
	v_mov_b32_e32 v6, s76
	ds_read_b32 v6, v6
	s_mov_b64 s[20:21], 0
	s_mov_b64 s[8:9], -1
	s_waitcnt lgkmcnt(0)
	v_cmp_class_f32_e64 s[6:7], v6, v3
	s_and_b64 vcc, exec, s[6:7]
	s_cbranch_vccnz .LBB2_60
; %bb.56:                               ;   in Loop: Header=BB2_55 Depth=1
	s_and_saveexec_b64 s[8:9], s[4:5]
	s_cbranch_execz .LBB2_59
; %bb.57:                               ;   in Loop: Header=BB2_55 Depth=1
	global_load_dword v7, v4, s[12:13]
	s_waitcnt vmcnt(0)
	v_cmp_ne_u32_e32 vcc, 0, v7
	s_cbranch_vccnz .LBB2_59
; %bb.58:                               ;   in Loop: Header=BB2_55 Depth=1
	s_add_i32 s20, s33, 1
	v_mov_b32_e32 v7, s20
	global_store_dword v4, v7, s[12:13]
.LBB2_59:                               ;   in Loop: Header=BB2_55 Depth=1
	s_or_b64 exec, exec, s[8:9]
	s_mov_b64 s[8:9], 0
	s_mov_b64 s[20:21], -1
.LBB2_60:                               ;   in Loop: Header=BB2_55 Depth=1
	s_andn2_b64 vcc, exec, s[8:9]
	s_cbranch_vccnz .LBB2_70
; %bb.61:                               ;   in Loop: Header=BB2_55 Depth=1
	v_mul_f32_e32 v7, 0x4f800000, v6
	v_cmp_gt_f32_e32 vcc, s74, v6
	v_cndmask_b32_e32 v6, v6, v7, vcc
	v_sqrt_f32_e32 v7, v6
	v_add_u32_e32 v8, -1, v7
	v_fma_f32 v10, -v8, v7, v6
	v_add_u32_e32 v9, 1, v7
	v_cmp_ge_f32_e64 s[8:9], 0, v10
	v_cndmask_b32_e64 v8, v7, v8, s[8:9]
	v_fma_f32 v7, -v9, v7, v6
	v_cmp_lt_f32_e64 s[8:9], 0, v7
	v_cndmask_b32_e64 v7, v8, v9, s[8:9]
	v_mul_f32_e32 v8, 0x37800000, v7
	v_cndmask_b32_e32 v7, v7, v8, vcc
	v_cmp_class_f32_e32 vcc, v6, v5
	v_cndmask_b32_e32 v6, v7, v6, vcc
	s_and_saveexec_b64 s[8:9], s[4:5]
; %bb.62:                               ;   in Loop: Header=BB2_55 Depth=1
	v_mov_b32_e32 v7, s76
	ds_write_b32 v7, v6
; %bb.63:                               ;   in Loop: Header=BB2_55 Depth=1
	s_or_b64 exec, exec, s[8:9]
	s_add_i32 s77, s33, 1
	v_add_u32_e32 v7, s77, v0
	v_cmp_gt_i32_e32 vcc, s41, v7
	s_mov_b64 s[30:31], -1
	s_waitcnt vmcnt(0) lgkmcnt(0)
	s_barrier
                                        ; implicit-def: $sgpr22_sgpr23
                                        ; implicit-def: $sgpr24_sgpr25
	s_and_saveexec_b64 s[8:9], vcc
	s_cbranch_execz .LBB2_72
; %bb.64:                               ;   in Loop: Header=BB2_55 Depth=1
	v_add_lshl_u32 v8, v0, s42, 2
	v_add3_u32 v8, 0, 4, v8
	s_mov_b64 s[30:31], 0
                                        ; implicit-def: $sgpr42_sgpr43
                                        ; implicit-def: $sgpr24_sgpr25
                                        ; implicit-def: $sgpr22_sgpr23
                                        ; implicit-def: $sgpr58_sgpr59
                                        ; implicit-def: $sgpr54_sgpr55
                                        ; implicit-def: $sgpr56_sgpr57
                                        ; implicit-def: $sgpr60_sgpr61
	s_branch .LBB2_67
.LBB2_65:                               ;   in Loop: Header=BB2_67 Depth=2
	s_or_b64 exec, exec, s[64:65]
	s_andn2_b64 s[60:61], s[60:61], exec
	s_and_b64 s[64:65], s[68:69], exec
	s_or_b64 s[60:61], s[60:61], s[64:65]
	s_andn2_b64 s[58:59], s[58:59], exec
	s_and_b64 s[64:65], s[66:67], exec
	s_andn2_b64 s[56:57], s[56:57], exec
	s_or_b64 s[54:55], s[54:55], exec
	s_or_b64 s[58:59], s[58:59], s[64:65]
.LBB2_66:                               ;   in Loop: Header=BB2_67 Depth=2
	s_or_b64 exec, exec, s[62:63]
	s_xor_b64 s[62:63], s[60:61], -1
	s_and_b64 s[64:65], exec, s[58:59]
	s_or_b64 s[30:31], s[64:65], s[30:31]
	s_andn2_b64 s[22:23], s[22:23], exec
	s_and_b64 s[64:65], s[56:57], exec
	s_or_b64 s[22:23], s[22:23], s[64:65]
	s_andn2_b64 s[24:25], s[24:25], exec
	s_and_b64 s[64:65], s[54:55], exec
	s_andn2_b64 s[42:43], s[42:43], exec
	s_and_b64 s[62:63], s[62:63], exec
	s_or_b64 s[24:25], s[24:25], s[64:65]
	s_or_b64 s[42:43], s[42:43], s[62:63]
	s_andn2_b64 exec, exec, s[30:31]
	s_cbranch_execz .LBB2_71
.LBB2_67:                               ;   Parent Loop BB2_55 Depth=1
                                        ; =>  This Inner Loop Header: Depth=2
	v_cmp_lt_i32_e32 vcc, -1, v7
	s_or_b64 s[60:61], s[60:61], exec
	s_or_b64 s[56:57], s[56:57], exec
	s_andn2_b64 s[54:55], s[54:55], exec
	s_or_b64 s[58:59], s[58:59], exec
	s_and_saveexec_b64 s[62:63], vcc
	s_cbranch_execz .LBB2_66
; %bb.68:                               ;   in Loop: Header=BB2_67 Depth=2
	v_cmp_le_u32_e32 vcc, s33, v7
	s_mov_b64 s[66:67], -1
	s_mov_b64 s[68:69], -1
	s_and_saveexec_b64 s[64:65], vcc
	s_cbranch_execz .LBB2_65
; %bb.69:                               ;   in Loop: Header=BB2_67 Depth=2
	ds_read_b32 v9, v8
	v_add_u32_e32 v7, s39, v7
	s_xor_b64 s[68:69], exec, -1
	s_waitcnt lgkmcnt(0)
	v_div_scale_f32 v10, s[66:67], v6, v6, v9
	v_div_scale_f32 v11, vcc, v9, v6, v9
	v_rcp_f32_e32 v12, v10
	v_fma_f32 v13, -v10, v12, 1.0
	v_fmac_f32_e32 v12, v13, v12
	v_mul_f32_e32 v13, v11, v12
	v_fma_f32 v14, -v10, v13, v11
	v_fmac_f32_e32 v13, v14, v12
	v_fma_f32 v10, -v10, v13, v11
	v_div_fmas_f32 v10, v10, v12, v13
	v_cmp_le_i32_e32 vcc, s41, v7
	s_orn2_b64 s[66:67], vcc, exec
	v_div_fixup_f32 v9, v10, v6, v9
	ds_write_b32 v8, v9
	v_add_u32_e32 v8, s71, v8
	s_branch .LBB2_65
.LBB2_70:                               ;   in Loop: Header=BB2_55 Depth=1
                                        ; implicit-def: $sgpr22_sgpr23
                                        ; implicit-def: $sgpr24_sgpr25
                                        ; implicit-def: $sgpr8_sgpr9
	s_mov_b64 s[30:31], -1
	s_and_saveexec_b64 s[42:43], s[20:21]
	s_cbranch_execz .LBB2_54
	s_branch .LBB2_88
.LBB2_71:                               ;   in Loop: Header=BB2_55 Depth=1
	s_or_b64 exec, exec, s[30:31]
	s_orn2_b64 s[30:31], s[42:43], exec
.LBB2_72:                               ;   in Loop: Header=BB2_55 Depth=1
	s_or_b64 exec, exec, s[8:9]
	s_mov_b64 s[8:9], 0
	s_and_saveexec_b64 s[42:43], s[30:31]
	s_xor_b64 s[30:31], exec, s[42:43]
	s_cbranch_execz .LBB2_87
; %bb.73:                               ;   in Loop: Header=BB2_55 Depth=1
	v_add_u32_e32 v6, s77, v41
	v_cmp_gt_i32_e32 vcc, s41, v6
	s_mov_b64 s[8:9], -1
	s_waitcnt lgkmcnt(0)
	s_barrier
	s_and_saveexec_b64 s[42:43], vcc
	s_cbranch_execz .LBB2_84
; %bb.74:                               ;   in Loop: Header=BB2_55 Depth=1
	v_add_u32_e32 v7, s77, v42
	v_cmp_gt_i32_e32 vcc, s41, v7
	s_mov_b64 s[54:55], 0
	v_mov_b32_e32 v8, v2
                                        ; implicit-def: $sgpr56_sgpr57
                                        ; implicit-def: $sgpr60_sgpr61
                                        ; implicit-def: $sgpr58_sgpr59
	s_branch .LBB2_77
.LBB2_75:                               ;   in Loop: Header=BB2_77 Depth=2
	s_or_b64 exec, exec, s[64:65]
	v_add_u32_e32 v6, s40, v6
	v_cmp_le_i32_e64 s[8:9], s41, v6
	s_andn2_b64 s[60:61], s[60:61], exec
	s_and_b64 s[8:9], s[8:9], exec
	v_subrev_u32_e32 v8, s73, v8
	s_andn2_b64 s[58:59], s[58:59], exec
	s_or_b64 s[60:61], s[60:61], s[8:9]
.LBB2_76:                               ;   in Loop: Header=BB2_77 Depth=2
	s_or_b64 exec, exec, s[62:63]
	s_xor_b64 s[8:9], s[58:59], -1
	s_and_b64 s[62:63], exec, s[60:61]
	s_or_b64 s[54:55], s[62:63], s[54:55]
	s_andn2_b64 s[56:57], s[56:57], exec
	s_and_b64 s[8:9], s[8:9], exec
	s_or_b64 s[56:57], s[56:57], s[8:9]
	s_andn2_b64 exec, exec, s[54:55]
	s_cbranch_execz .LBB2_83
.LBB2_77:                               ;   Parent Loop BB2_55 Depth=1
                                        ; =>  This Loop Header: Depth=2
                                        ;       Child Loop BB2_81 Depth 3
	v_cmp_lt_i32_e64 s[8:9], -1, v6
	s_or_b64 s[58:59], s[58:59], exec
	s_or_b64 s[60:61], s[60:61], exec
	s_and_saveexec_b64 s[62:63], s[8:9]
	s_cbranch_execz .LBB2_76
; %bb.78:                               ;   in Loop: Header=BB2_77 Depth=2
	s_and_saveexec_b64 s[64:65], vcc
	s_cbranch_execz .LBB2_75
; %bb.79:                               ;   in Loop: Header=BB2_77 Depth=2
	s_waitcnt lgkmcnt(0)
	v_sub_u32_e32 v9, s70, v6
	v_mul_lo_u32 v10, v9, v6
	v_subrev_u32_e32 v9, s33, v6
	v_lshl_add_u32 v9, v9, 2, s76
	ds_read_b32 v9, v9
	v_lshrrev_b32_e32 v11, 31, v10
	v_add_lshl_u32 v10, v10, v11, 1
	v_and_b32_e32 v10, -4, v10
	v_add_u32_e32 v10, v8, v10
	s_mov_b64 s[66:67], 0
	v_mov_b32_e32 v11, v1
	v_mov_b32_e32 v12, v7
	s_branch .LBB2_81
.LBB2_80:                               ;   in Loop: Header=BB2_81 Depth=3
	s_or_b64 exec, exec, s[68:69]
	v_add_u32_e32 v12, s86, v12
	v_cmp_le_i32_e64 s[8:9], s41, v12
	s_or_b64 s[66:67], s[8:9], s[66:67]
	v_add_u32_e32 v11, s72, v11
	s_andn2_b64 exec, exec, s[66:67]
	s_cbranch_execz .LBB2_75
.LBB2_81:                               ;   Parent Loop BB2_55 Depth=1
                                        ;     Parent Loop BB2_77 Depth=2
                                        ; =>    This Inner Loop Header: Depth=3
	v_cmp_ge_i32_e64 s[8:9], v12, v6
	s_and_saveexec_b64 s[68:69], s[8:9]
	s_cbranch_execz .LBB2_80
; %bb.82:                               ;   in Loop: Header=BB2_81 Depth=3
	v_add_u32_e32 v13, s75, v11
	v_add_u32_e32 v14, v11, v10
	ds_read_b32 v13, v13 offset:4
	ds_read_b32 v15, v14
	s_waitcnt lgkmcnt(0)
	v_fma_f32 v13, -v9, v13, v15
	ds_write_b32 v14, v13
	s_branch .LBB2_80
.LBB2_83:                               ;   in Loop: Header=BB2_55 Depth=1
	s_or_b64 exec, exec, s[54:55]
	s_orn2_b64 s[8:9], s[56:57], exec
.LBB2_84:                               ;   in Loop: Header=BB2_55 Depth=1
	s_or_b64 exec, exec, s[42:43]
	s_mov_b64 s[42:43], s[20:21]
	s_and_saveexec_b64 s[54:55], s[8:9]
	s_cbranch_execz .LBB2_86
; %bb.85:                               ;   in Loop: Header=BB2_55 Depth=1
	s_or_b64 s[42:43], s[20:21], exec
	s_waitcnt lgkmcnt(0)
	s_barrier
.LBB2_86:                               ;   in Loop: Header=BB2_55 Depth=1
	s_or_b64 exec, exec, s[54:55]
	s_andn2_b64 s[20:21], s[20:21], exec
	s_and_b64 s[42:43], s[42:43], exec
	s_mov_b64 s[8:9], exec
	s_andn2_b64 s[24:25], s[24:25], exec
	s_andn2_b64 s[22:23], s[22:23], exec
	s_or_b64 s[20:21], s[20:21], s[42:43]
.LBB2_87:                               ;   in Loop: Header=BB2_55 Depth=1
	s_or_b64 exec, exec, s[30:31]
	s_mov_b64 s[30:31], -1
	s_and_saveexec_b64 s[42:43], s[20:21]
	s_cbranch_execz .LBB2_54
.LBB2_88:                               ;   in Loop: Header=BB2_55 Depth=1
	s_add_i32 s33, s33, 1
	s_cmp_eq_u32 s33, s41
	s_cselect_b64 s[20:21], -1, 0
	s_xor_b64 s[6:7], s[6:7], -1
	s_or_b64 s[6:7], s[6:7], s[20:21]
	s_andn2_b64 s[8:9], s[8:9], exec
	s_andn2_b64 s[24:25], s[24:25], exec
	;; [unrolled: 1-line block ×3, first 2 shown]
	s_orn2_b64 s[30:31], s[6:7], exec
	s_branch .LBB2_54
.LBB2_89:
	s_or_b64 exec, exec, s[16:17]
	s_mov_b64 s[6:7], 0
	s_mov_b64 s[42:43], -1
	s_mov_b64 s[56:57], 0
	s_mov_b64 s[54:55], 0
	s_and_saveexec_b64 s[4:5], s[18:19]
	s_cbranch_execz .LBB2_93
; %bb.90:
	s_mov_b64 s[12:13], -1
	s_mov_b64 s[8:9], 0
	s_and_saveexec_b64 s[16:17], s[14:15]
	s_xor_b64 s[14:15], exec, s[16:17]
; %bb.91:
	s_mov_b64 s[8:9], exec
	s_xor_b64 s[12:13], exec, -1
	s_and_b64 s[6:7], s[10:11], exec
; %bb.92:
	s_or_b64 exec, exec, s[14:15]
	s_xor_b64 s[42:43], exec, -1
	s_and_b64 s[54:55], s[12:13], exec
	s_and_b64 s[56:57], s[8:9], exec
	;; [unrolled: 1-line block ×3, first 2 shown]
.LBB2_93:
	s_or_b64 exec, exec, s[4:5]
	s_mov_b64 s[60:61], s[34:35]
	s_and_saveexec_b64 s[58:59], s[6:7]
	s_cbranch_execnz .LBB2_95
	s_branch .LBB2_101
.LBB2_94:
	s_mov_b64 s[6:7], -1
	s_mov_b64 s[56:57], 0
	s_mov_b64 s[54:55], 0
	;; [unrolled: 1-line block ×4, first 2 shown]
	s_and_saveexec_b64 s[58:59], s[6:7]
	s_cbranch_execz .LBB2_101
.LBB2_95:
	s_mov_b64 s[4:5], -1
	s_mov_b64 s[60:61], 0
	s_and_b64 vcc, exec, s[52:53]
	s_mov_b64 s[6:7], 0
	s_mov_b64 s[62:63], s[34:35]
	s_waitcnt vmcnt(0) lgkmcnt(0)
	s_barrier
	s_cbranch_vccnz .LBB2_119
; %bb.96:
	s_and_b64 vcc, exec, s[4:5]
	s_cbranch_vccnz .LBB2_146
.LBB2_97:
	s_and_saveexec_b64 s[4:5], s[6:7]
	s_cbranch_execnz .LBB2_159
.LBB2_98:
	s_or_b64 exec, exec, s[4:5]
	s_and_saveexec_b64 s[4:5], s[60:61]
	s_xor_b64 s[28:29], exec, s[4:5]
	s_cbranch_execz .LBB2_100
.LBB2_99:
	s_add_u32 s8, s26, 48
	s_addc_u32 s9, s27, 0
	s_getpc_b64 s[4:5]
	s_add_u32 s4, s4, .str.9@rel32@lo+4
	s_addc_u32 s5, s5, .str.9@rel32@hi+12
	s_getpc_b64 s[6:7]
	s_add_u32 s6, s6, __PRETTY_FUNCTION__._ZN9rocsolver6v33100L9idx_lowerIiEET_S2_S2_S2_@rel32@lo+4
	s_addc_u32 s7, s7, __PRETTY_FUNCTION__._ZN9rocsolver6v33100L9idx_lowerIiEET_S2_S2_S2_@rel32@hi+12
	s_getpc_b64 s[10:11]
	s_add_u32 s10, s10, __assert_fail@rel32@lo+4
	s_addc_u32 s11, s11, __assert_fail@rel32@hi+12
	v_mov_b32_e32 v0, s4
	v_mov_b32_e32 v1, s5
	;; [unrolled: 1-line block ×5, first 2 shown]
	s_swappc_b64 s[30:31], s[10:11]
	s_or_b64 s[62:63], s[62:63], exec
.LBB2_100:
	s_or_b64 exec, exec, s[28:29]
	s_andn2_b64 s[4:5], s[34:35], exec
	s_and_b64 s[6:7], s[62:63], exec
	s_or_b64 s[60:61], s[4:5], s[6:7]
	s_andn2_b64 s[56:57], s[56:57], exec
.LBB2_101:
	s_or_b64 exec, exec, s[58:59]
	s_and_saveexec_b64 s[4:5], s[56:57]
	s_xor_b64 s[28:29], exec, s[4:5]
	s_cbranch_execnz .LBB2_117
; %bb.102:
	s_or_b64 exec, exec, s[28:29]
	s_and_saveexec_b64 s[4:5], s[54:55]
	s_xor_b64 s[28:29], exec, s[4:5]
	s_cbranch_execnz .LBB2_118
.LBB2_103:
	s_or_b64 exec, exec, s[28:29]
	s_and_saveexec_b64 s[4:5], s[42:43]
	s_xor_b64 s[28:29], exec, s[4:5]
	s_cbranch_execz .LBB2_105
.LBB2_104:
	s_add_u32 s8, s26, 48
	s_addc_u32 s9, s27, 0
	s_getpc_b64 s[4:5]
	s_add_u32 s4, s4, .str.8@rel32@lo+4
	s_addc_u32 s5, s5, .str.8@rel32@hi+12
	s_getpc_b64 s[6:7]
	s_add_u32 s6, s6, __PRETTY_FUNCTION__._ZN9rocsolver6v33100L9idx_lowerIiEET_S2_S2_S2_@rel32@lo+4
	s_addc_u32 s7, s7, __PRETTY_FUNCTION__._ZN9rocsolver6v33100L9idx_lowerIiEET_S2_S2_S2_@rel32@hi+12
	s_getpc_b64 s[10:11]
	s_add_u32 s10, s10, __assert_fail@rel32@lo+4
	s_addc_u32 s11, s11, __assert_fail@rel32@hi+12
	v_mov_b32_e32 v0, s4
	v_mov_b32_e32 v1, s5
	;; [unrolled: 1-line block ×5, first 2 shown]
	s_swappc_b64 s[30:31], s[10:11]
	s_or_b64 s[60:61], s[60:61], exec
.LBB2_105:
	s_or_b64 exec, exec, s[28:29]
	s_andn2_b64 s[4:5], s[34:35], exec
	s_and_b64 s[6:7], s[60:61], exec
	s_or_b64 s[34:35], s[4:5], s[6:7]
	s_andn2_b64 s[48:49], s[48:49], exec
.LBB2_106:
	s_or_b64 exec, exec, s[50:51]
	s_and_saveexec_b64 s[4:5], s[48:49]
	s_xor_b64 s[28:29], exec, s[4:5]
	s_cbranch_execz .LBB2_108
; %bb.107:
	s_add_u32 s8, s26, 48
	s_addc_u32 s9, s27, 0
	s_getpc_b64 s[4:5]
	s_add_u32 s4, s4, .str.9@rel32@lo+4
	s_addc_u32 s5, s5, .str.9@rel32@hi+12
	s_getpc_b64 s[6:7]
	s_add_u32 s6, s6, __PRETTY_FUNCTION__._ZN9rocsolver6v33100L9idx_lowerIiEET_S2_S2_S2_@rel32@lo+4
	s_addc_u32 s7, s7, __PRETTY_FUNCTION__._ZN9rocsolver6v33100L9idx_lowerIiEET_S2_S2_S2_@rel32@hi+12
	s_getpc_b64 s[10:11]
	s_add_u32 s10, s10, __assert_fail@rel32@lo+4
	s_addc_u32 s11, s11, __assert_fail@rel32@hi+12
	v_mov_b32_e32 v0, s4
	v_mov_b32_e32 v1, s5
	;; [unrolled: 1-line block ×5, first 2 shown]
	s_swappc_b64 s[30:31], s[10:11]
	s_or_b64 s[34:35], s[34:35], exec
.LBB2_108:
	s_or_b64 exec, exec, s[28:29]
	s_branch .LBB2_110
.LBB2_109:
	s_add_u32 s8, s26, 48
	s_addc_u32 s9, s27, 0
	s_getpc_b64 s[4:5]
	s_add_u32 s4, s4, .str.4@rel32@lo+4
	s_addc_u32 s5, s5, .str.4@rel32@hi+12
	s_getpc_b64 s[6:7]
	s_add_u32 s6, s6, __PRETTY_FUNCTION__._ZN9rocsolver6v33100L18potf2_kernel_smallIfiiPfEEvbT0_T2_lS3_lPT1_@rel32@lo+4
	s_addc_u32 s7, s7, __PRETTY_FUNCTION__._ZN9rocsolver6v33100L18potf2_kernel_smallIfiiPfEEvbT0_T2_lS3_lPT1_@rel32@hi+12
	s_getpc_b64 s[10:11]
	s_add_u32 s10, s10, __assert_fail@rel32@lo+4
	s_addc_u32 s11, s11, __assert_fail@rel32@hi+12
	v_mov_b32_e32 v0, s4
	v_mov_b32_e32 v1, s5
	;; [unrolled: 1-line block ×5, first 2 shown]
	s_swappc_b64 s[30:31], s[10:11]
	s_or_b64 s[34:35], s[34:35], exec
.LBB2_110:
	s_branch .LBB2_112
.LBB2_111:
	s_add_u32 s8, s26, 48
	s_addc_u32 s9, s27, 0
	s_getpc_b64 s[4:5]
	s_add_u32 s4, s4, .str.3@rel32@lo+4
	s_addc_u32 s5, s5, .str.3@rel32@hi+12
	s_getpc_b64 s[6:7]
	s_add_u32 s6, s6, __PRETTY_FUNCTION__._ZN9rocsolver6v33100L18potf2_kernel_smallIfiiPfEEvbT0_T2_lS3_lPT1_@rel32@lo+4
	s_addc_u32 s7, s7, __PRETTY_FUNCTION__._ZN9rocsolver6v33100L18potf2_kernel_smallIfiiPfEEvbT0_T2_lS3_lPT1_@rel32@hi+12
	s_getpc_b64 s[10:11]
	s_add_u32 s10, s10, __assert_fail@rel32@lo+4
	s_addc_u32 s11, s11, __assert_fail@rel32@hi+12
	v_mov_b32_e32 v0, s4
	v_mov_b32_e32 v1, s5
	;; [unrolled: 1-line block ×5, first 2 shown]
	s_swappc_b64 s[30:31], s[10:11]
	s_or_b64 s[34:35], s[34:35], exec
.LBB2_112:
	s_branch .LBB2_114
.LBB2_113:
	s_add_u32 s8, s26, 48
	s_addc_u32 s9, s27, 0
	s_getpc_b64 s[4:5]
	s_add_u32 s4, s4, .str.2@rel32@lo+4
	s_addc_u32 s5, s5, .str.2@rel32@hi+12
	s_getpc_b64 s[6:7]
	s_add_u32 s6, s6, __PRETTY_FUNCTION__._ZN9rocsolver6v33100L18potf2_kernel_smallIfiiPfEEvbT0_T2_lS3_lPT1_@rel32@lo+4
	s_addc_u32 s7, s7, __PRETTY_FUNCTION__._ZN9rocsolver6v33100L18potf2_kernel_smallIfiiPfEEvbT0_T2_lS3_lPT1_@rel32@hi+12
	s_getpc_b64 s[10:11]
	s_add_u32 s10, s10, __assert_fail@rel32@lo+4
	s_addc_u32 s11, s11, __assert_fail@rel32@hi+12
	v_mov_b32_e32 v0, s4
	v_mov_b32_e32 v1, s5
	;; [unrolled: 1-line block ×5, first 2 shown]
	s_swappc_b64 s[30:31], s[10:11]
	s_or_b64 s[34:35], s[34:35], exec
.LBB2_114:
	s_and_saveexec_b64 s[4:5], s[34:35]
; %bb.115:
	; divergent unreachable
; %bb.116:
	s_endpgm
.LBB2_117:
	s_add_u32 s8, s26, 48
	s_addc_u32 s9, s27, 0
	s_getpc_b64 s[4:5]
	s_add_u32 s4, s4, .str.8@rel32@lo+4
	s_addc_u32 s5, s5, .str.8@rel32@hi+12
	s_getpc_b64 s[6:7]
	s_add_u32 s6, s6, __PRETTY_FUNCTION__._ZN9rocsolver6v33100L9idx_lowerIiEET_S2_S2_S2_@rel32@lo+4
	s_addc_u32 s7, s7, __PRETTY_FUNCTION__._ZN9rocsolver6v33100L9idx_lowerIiEET_S2_S2_S2_@rel32@hi+12
	s_getpc_b64 s[10:11]
	s_add_u32 s10, s10, __assert_fail@rel32@lo+4
	s_addc_u32 s11, s11, __assert_fail@rel32@hi+12
	v_mov_b32_e32 v0, s4
	v_mov_b32_e32 v1, s5
	;; [unrolled: 1-line block ×5, first 2 shown]
	s_swappc_b64 s[30:31], s[10:11]
	s_or_b64 s[60:61], s[60:61], exec
	s_or_b64 exec, exec, s[28:29]
	s_and_saveexec_b64 s[4:5], s[54:55]
	s_xor_b64 s[28:29], exec, s[4:5]
	s_cbranch_execz .LBB2_103
.LBB2_118:
	s_add_u32 s8, s26, 48
	s_addc_u32 s9, s27, 0
	s_getpc_b64 s[4:5]
	s_add_u32 s4, s4, .str.10@rel32@lo+4
	s_addc_u32 s5, s5, .str.10@rel32@hi+12
	s_getpc_b64 s[6:7]
	s_add_u32 s6, s6, __PRETTY_FUNCTION__._ZN9rocsolver6v33100L9idx_lowerIiEET_S2_S2_S2_@rel32@lo+4
	s_addc_u32 s7, s7, __PRETTY_FUNCTION__._ZN9rocsolver6v33100L9idx_lowerIiEET_S2_S2_S2_@rel32@hi+12
	s_getpc_b64 s[10:11]
	s_add_u32 s10, s10, __assert_fail@rel32@lo+4
	s_addc_u32 s11, s11, __assert_fail@rel32@hi+12
	v_mov_b32_e32 v0, s4
	v_mov_b32_e32 v1, s5
	;; [unrolled: 1-line block ×5, first 2 shown]
	s_swappc_b64 s[30:31], s[10:11]
	s_or_b64 s[60:61], s[60:61], exec
	s_or_b64 exec, exec, s[28:29]
	s_and_saveexec_b64 s[4:5], s[42:43]
	s_xor_b64 s[28:29], exec, s[4:5]
	s_cbranch_execnz .LBB2_104
	s_branch .LBB2_105
.LBB2_119:
	s_mov_b64 s[6:7], -1
	s_mov_b64 s[62:63], s[34:35]
	s_and_saveexec_b64 s[52:53], s[28:29]
	s_cbranch_execz .LBB2_145
; %bb.120:
	s_lshl_b32 s4, s41, 1
	s_or_b32 s33, s4, 1
	v_add_u32_e32 v2, v41, v42
	v_lshl_add_u32 v3, v42, 2, 0
	s_lshl_b32 s39, s86, 2
	s_mov_b64 s[14:15], 0
	v_mov_b32_e32 v4, v41
                                        ; implicit-def: $sgpr12_sgpr13
                                        ; implicit-def: $sgpr10_sgpr11
                                        ; implicit-def: $sgpr8_sgpr9
                                        ; implicit-def: $sgpr16_sgpr17
	s_branch .LBB2_122
.LBB2_121:                              ;   in Loop: Header=BB2_122 Depth=1
	s_or_b64 exec, exec, s[22:23]
	s_xor_b64 s[6:7], s[20:21], -1
	s_xor_b64 s[18:19], s[18:19], -1
	s_and_b64 s[4:5], exec, s[4:5]
	s_or_b64 s[14:15], s[4:5], s[14:15]
	s_andn2_b64 s[4:5], s[8:9], exec
	s_and_b64 s[8:9], s[16:17], exec
	s_or_b64 s[8:9], s[4:5], s[8:9]
	s_andn2_b64 s[4:5], s[10:11], exec
	s_and_b64 s[6:7], s[6:7], exec
	;; [unrolled: 3-line block ×3, first 2 shown]
	s_or_b64 s[12:13], s[4:5], s[6:7]
	s_andn2_b64 exec, exec, s[14:15]
	s_cbranch_execz .LBB2_134
.LBB2_122:                              ; =>This Loop Header: Depth=1
                                        ;     Child Loop BB2_127 Depth 2
	v_add_u32_e32 v0, v4, v42
	v_cmp_gt_i32_e32 vcc, s41, v0
	s_mov_b64 s[6:7], -1
                                        ; implicit-def: $sgpr18_sgpr19
                                        ; implicit-def: $sgpr20_sgpr21
                                        ; implicit-def: $sgpr24_sgpr25
	s_and_saveexec_b64 s[22:23], vcc
	s_cbranch_execz .LBB2_132
; %bb.123:                              ;   in Loop: Header=BB2_122 Depth=1
	v_sub_u32_e32 v1, s33, v4
	v_mad_i64_i32 v[5:6], s[4:5], v4, s38, 0
	v_mul_lo_u32 v1, v1, v4
	v_mov_b32_e32 v8, s88
	v_lshlrev_b64 v[5:6], 2, v[5:6]
	v_cmp_lt_i32_e32 vcc, -1, v4
	v_lshrrev_b32_e32 v7, 31, v1
	v_add_co_u32_e64 v5, s[4:5], s87, v5
	v_add_lshl_u32 v1, v1, v7, 1
	v_addc_co_u32_e64 v6, s[4:5], v8, v6, s[4:5]
	v_and_b32_e32 v1, -4, v1
	v_cmp_ge_u32_e64 s[4:5], v2, v4
	v_add_u32_e32 v7, v3, v1
	s_mov_b64 s[30:31], 0
                                        ; implicit-def: $sgpr62_sgpr63
                                        ; implicit-def: $sgpr24_sgpr25
                                        ; implicit-def: $sgpr20_sgpr21
                                        ; implicit-def: $sgpr18_sgpr19
                                        ; implicit-def: $sgpr64_sgpr65
                                        ; implicit-def: $sgpr68_sgpr69
                                        ; implicit-def: $sgpr70_sgpr71
                                        ; implicit-def: $sgpr66_sgpr67
                                        ; implicit-def: $sgpr72_sgpr73
	s_branch .LBB2_127
.LBB2_124:                              ;   in Loop: Header=BB2_127 Depth=2
	s_or_b64 exec, exec, s[78:79]
	s_mov_b64 s[6:7], exec
	s_orn2_b64 s[82:83], s[80:81], exec
	s_xor_b64 s[80:81], exec, -1
	s_orn2_b64 s[78:79], s[84:85], exec
.LBB2_125:                              ;   in Loop: Header=BB2_127 Depth=2
	s_or_b64 exec, exec, s[76:77]
	s_andn2_b64 s[72:73], s[72:73], exec
	s_and_b64 s[76:77], s[82:83], exec
	s_andn2_b64 s[68:69], s[68:69], exec
	s_and_b64 s[6:7], s[6:7], exec
	s_or_b64 s[72:73], s[72:73], s[76:77]
	s_andn2_b64 s[70:71], s[70:71], exec
	s_and_b64 s[76:77], s[80:81], exec
	s_or_b64 s[68:69], s[68:69], s[6:7]
	s_andn2_b64 s[6:7], s[64:65], exec
	s_and_b64 s[64:65], s[78:79], exec
	s_andn2_b64 s[66:67], s[66:67], exec
	s_or_b64 s[70:71], s[70:71], s[76:77]
	s_or_b64 s[64:65], s[6:7], s[64:65]
.LBB2_126:                              ;   in Loop: Header=BB2_127 Depth=2
	s_or_b64 exec, exec, s[74:75]
	s_xor_b64 s[6:7], s[72:73], -1
	s_and_b64 s[74:75], exec, s[64:65]
	s_or_b64 s[30:31], s[74:75], s[30:31]
	s_andn2_b64 s[18:19], s[18:19], exec
	s_and_b64 s[74:75], s[66:67], exec
	s_or_b64 s[18:19], s[18:19], s[74:75]
	s_andn2_b64 s[20:21], s[20:21], exec
	s_and_b64 s[74:75], s[70:71], exec
	;; [unrolled: 3-line block ×3, first 2 shown]
	s_andn2_b64 s[62:63], s[62:63], exec
	s_and_b64 s[6:7], s[6:7], exec
	s_or_b64 s[24:25], s[24:25], s[74:75]
	s_or_b64 s[62:63], s[62:63], s[6:7]
	s_andn2_b64 exec, exec, s[30:31]
	s_cbranch_execz .LBB2_131
.LBB2_127:                              ;   Parent Loop BB2_122 Depth=1
                                        ; =>  This Inner Loop Header: Depth=2
	v_cmp_lt_i32_e64 s[6:7], -1, v0
	s_or_b64 s[72:73], s[72:73], exec
	s_or_b64 s[66:67], s[66:67], exec
	s_andn2_b64 s[70:71], s[70:71], exec
	s_andn2_b64 s[68:69], s[68:69], exec
	s_or_b64 s[64:65], s[64:65], exec
	s_and_saveexec_b64 s[74:75], s[6:7]
	s_cbranch_execz .LBB2_126
; %bb.128:                              ;   in Loop: Header=BB2_127 Depth=2
	s_mov_b64 s[6:7], 0
	s_mov_b64 s[78:79], -1
	s_mov_b64 s[80:81], -1
	;; [unrolled: 1-line block ×3, first 2 shown]
	s_and_saveexec_b64 s[76:77], vcc
	s_cbranch_execz .LBB2_125
; %bb.129:                              ;   in Loop: Header=BB2_127 Depth=2
	s_mov_b64 s[84:85], -1
	s_and_saveexec_b64 s[78:79], s[4:5]
	s_cbranch_execz .LBB2_124
; %bb.130:                              ;   in Loop: Header=BB2_127 Depth=2
	v_ashrrev_i32_e32 v1, 31, v0
	v_lshlrev_b64 v[8:9], 2, v[0:1]
	ds_read_b32 v10, v7
	v_add_co_u32_e64 v8, s[6:7], v5, v8
	v_addc_co_u32_e64 v9, s[6:7], v6, v9, s[6:7]
	v_add_u32_e32 v0, s86, v0
	v_cmp_le_i32_e64 s[6:7], s41, v0
	v_add_u32_e32 v7, s39, v7
	s_xor_b64 s[80:81], exec, -1
	s_orn2_b64 s[84:85], s[6:7], exec
	s_waitcnt lgkmcnt(0)
	global_store_dword v[8:9], v10, off
	s_branch .LBB2_124
.LBB2_131:                              ;   in Loop: Header=BB2_122 Depth=1
	s_or_b64 exec, exec, s[30:31]
	s_orn2_b64 s[6:7], s[62:63], exec
.LBB2_132:                              ;   in Loop: Header=BB2_122 Depth=1
	s_or_b64 exec, exec, s[22:23]
	s_andn2_b64 s[16:17], s[16:17], exec
	s_and_b64 s[22:23], s[24:25], exec
	s_mov_b64 s[4:5], -1
	s_or_b64 s[16:17], s[16:17], s[22:23]
	s_and_saveexec_b64 s[22:23], s[6:7]
	s_cbranch_execz .LBB2_121
; %bb.133:                              ;   in Loop: Header=BB2_122 Depth=1
	v_add_u32_e32 v4, s40, v4
	v_cmp_le_i32_e32 vcc, s41, v4
	v_add_u32_e32 v2, s40, v2
	s_andn2_b64 s[16:17], s[16:17], exec
	s_andn2_b64 s[20:21], s[20:21], exec
	;; [unrolled: 1-line block ×3, first 2 shown]
	s_orn2_b64 s[4:5], vcc, exec
	s_branch .LBB2_121
.LBB2_134:
	s_or_b64 exec, exec, s[14:15]
	s_mov_b64 s[64:65], 0
	s_mov_b64 s[68:69], s[34:35]
	s_and_saveexec_b64 s[4:5], s[12:13]
	s_xor_b64 s[62:63], exec, s[4:5]
	s_cbranch_execz .LBB2_142
; %bb.135:
	s_mov_b64 s[66:67], 0
	s_mov_b64 s[68:69], s[34:35]
	s_and_saveexec_b64 s[4:5], s[10:11]
	s_xor_b64 s[64:65], exec, s[4:5]
	s_cbranch_execz .LBB2_139
; %bb.136:
	s_mov_b64 s[4:5], -1
	s_mov_b64 s[6:7], s[34:35]
	s_and_saveexec_b64 s[10:11], s[8:9]
	s_xor_b64 s[66:67], exec, s[10:11]
	s_cbranch_execz .LBB2_138
; %bb.137:
	s_add_u32 s8, s26, 48
	s_addc_u32 s9, s27, 0
	s_getpc_b64 s[4:5]
	s_add_u32 s4, s4, .str.10@rel32@lo+4
	s_addc_u32 s5, s5, .str.10@rel32@hi+12
	s_getpc_b64 s[6:7]
	s_add_u32 s6, s6, __PRETTY_FUNCTION__._ZN9rocsolver6v33100L9idx_lowerIiEET_S2_S2_S2_@rel32@lo+4
	s_addc_u32 s7, s7, __PRETTY_FUNCTION__._ZN9rocsolver6v33100L9idx_lowerIiEET_S2_S2_S2_@rel32@hi+12
	s_getpc_b64 s[10:11]
	s_add_u32 s10, s10, __assert_fail@rel32@lo+4
	s_addc_u32 s11, s11, __assert_fail@rel32@hi+12
	v_mov_b32_e32 v0, s4
	v_mov_b32_e32 v1, s5
	;; [unrolled: 1-line block ×5, first 2 shown]
	s_swappc_b64 s[30:31], s[10:11]
	s_or_b64 s[6:7], s[34:35], exec
	s_xor_b64 s[4:5], exec, -1
.LBB2_138:
	s_or_b64 exec, exec, s[66:67]
	s_andn2_b64 s[8:9], s[34:35], exec
	s_and_b64 s[6:7], s[6:7], exec
	s_or_b64 s[68:69], s[8:9], s[6:7]
	s_and_b64 s[66:67], s[4:5], exec
.LBB2_139:
	s_andn2_saveexec_b64 s[64:65], s[64:65]
	s_cbranch_execz .LBB2_141
; %bb.140:
	s_add_u32 s8, s26, 48
	s_addc_u32 s9, s27, 0
	s_getpc_b64 s[4:5]
	s_add_u32 s4, s4, .str.9@rel32@lo+4
	s_addc_u32 s5, s5, .str.9@rel32@hi+12
	s_getpc_b64 s[6:7]
	s_add_u32 s6, s6, __PRETTY_FUNCTION__._ZN9rocsolver6v33100L9idx_lowerIiEET_S2_S2_S2_@rel32@lo+4
	s_addc_u32 s7, s7, __PRETTY_FUNCTION__._ZN9rocsolver6v33100L9idx_lowerIiEET_S2_S2_S2_@rel32@hi+12
	s_getpc_b64 s[10:11]
	s_add_u32 s10, s10, __assert_fail@rel32@lo+4
	s_addc_u32 s11, s11, __assert_fail@rel32@hi+12
	v_mov_b32_e32 v0, s4
	v_mov_b32_e32 v1, s5
	v_mov_b32_e32 v2, 0x50
	v_mov_b32_e32 v3, s6
	v_mov_b32_e32 v4, s7
	s_swappc_b64 s[30:31], s[10:11]
	s_or_b64 s[68:69], s[68:69], exec
.LBB2_141:
	s_or_b64 exec, exec, s[64:65]
	s_andn2_b64 s[4:5], s[34:35], exec
	s_and_b64 s[6:7], s[68:69], exec
	s_or_b64 s[68:69], s[4:5], s[6:7]
	s_and_b64 s[64:65], s[66:67], exec
.LBB2_142:
	s_andn2_saveexec_b64 s[62:63], s[62:63]
	s_cbranch_execz .LBB2_144
; %bb.143:
	s_add_u32 s8, s26, 48
	s_addc_u32 s9, s27, 0
	s_getpc_b64 s[4:5]
	s_add_u32 s4, s4, .str.8@rel32@lo+4
	s_addc_u32 s5, s5, .str.8@rel32@hi+12
	s_getpc_b64 s[6:7]
	s_add_u32 s6, s6, __PRETTY_FUNCTION__._ZN9rocsolver6v33100L9idx_lowerIiEET_S2_S2_S2_@rel32@lo+4
	s_addc_u32 s7, s7, __PRETTY_FUNCTION__._ZN9rocsolver6v33100L9idx_lowerIiEET_S2_S2_S2_@rel32@hi+12
	s_getpc_b64 s[10:11]
	s_add_u32 s10, s10, __assert_fail@rel32@lo+4
	s_addc_u32 s11, s11, __assert_fail@rel32@hi+12
	v_mov_b32_e32 v0, s4
	v_mov_b32_e32 v1, s5
	;; [unrolled: 1-line block ×5, first 2 shown]
	s_swappc_b64 s[30:31], s[10:11]
	s_or_b64 s[68:69], s[68:69], exec
.LBB2_144:
	s_or_b64 exec, exec, s[62:63]
	s_andn2_b64 s[4:5], s[34:35], exec
	s_and_b64 s[6:7], s[68:69], exec
	s_or_b64 s[62:63], s[4:5], s[6:7]
	s_orn2_b64 s[6:7], s[64:65], exec
.LBB2_145:
	s_or_b64 exec, exec, s[52:53]
	s_branch .LBB2_97
.LBB2_146:
	s_mov_b64 s[6:7], -1
	s_mov_b64 s[60:61], 0
	s_and_saveexec_b64 s[4:5], s[28:29]
	s_cbranch_execz .LBB2_158
; %bb.147:
	v_lshlrev_b32_e32 v0, 2, v41
	v_lshlrev_b32_e32 v1, 2, v42
	s_lshl_b32 s25, s86, 2
	s_ashr_i32 s39, s38, 31
	s_lshl_b32 s6, s41, 1
	v_sub_u32_e32 v0, v0, v1
	s_lshl_b32 s24, s40, 2
	s_sub_i32 s28, 0, s25
	v_add_u32_e32 v4, 0, v0
	v_sub_u32_e32 v0, s6, v42
	s_add_u32 s6, s44, s46
	s_addc_u32 s7, s45, s47
	s_add_u32 s6, s36, s6
	s_addc_u32 s7, s37, s7
	v_add_u32_e32 v5, 1, v0
	v_mov_b32_e32 v2, s7
	v_add_co_u32_e32 v0, vcc, s6, v1
	v_addc_co_u32_e32 v1, vcc, 0, v2, vcc
	s_lshl_b64 s[6:7], s[38:39], 2
	s_mov_b64 s[8:9], 0
                                        ; implicit-def: $sgpr10_sgpr11
	s_branch .LBB2_149
.LBB2_148:                              ;   in Loop: Header=BB2_149 Depth=1
	s_or_b64 exec, exec, s[18:19]
	s_xor_b64 s[14:15], s[14:15], -1
	s_and_b64 s[12:13], exec, s[12:13]
	s_or_b64 s[8:9], s[12:13], s[8:9]
	s_andn2_b64 s[10:11], s[10:11], exec
	s_and_b64 s[12:13], s[14:15], exec
	s_or_b64 s[10:11], s[10:11], s[12:13]
	s_andn2_b64 exec, exec, s[8:9]
	s_cbranch_execz .LBB2_157
.LBB2_149:                              ; =>This Loop Header: Depth=1
                                        ;     Child Loop BB2_152 Depth 2
	v_cmp_le_i32_e32 vcc, v42, v41
	s_mov_b64 s[16:17], -1
	s_and_saveexec_b64 s[12:13], vcc
	s_cbranch_execz .LBB2_155
; %bb.150:                              ;   in Loop: Header=BB2_149 Depth=1
	v_mad_u64_u32 v[2:3], s[14:15], s6, v41, v[0:1]
	v_mov_b32_e32 v6, v5
	v_mov_b32_e32 v7, v4
	v_mad_u64_u32 v[8:9], s[14:15], s7, v41, v[3:4]
	s_mov_b64 s[14:15], 0
                                        ; implicit-def: $sgpr16_sgpr17
                                        ; implicit-def: $sgpr20_sgpr21
                                        ; implicit-def: $sgpr18_sgpr19
	v_mov_b32_e32 v3, v8
	v_mov_b32_e32 v8, v42
	s_branch .LBB2_152
.LBB2_151:                              ;   in Loop: Header=BB2_152 Depth=2
	s_or_b64 exec, exec, s[22:23]
	s_xor_b64 s[22:23], s[18:19], -1
	s_and_b64 s[30:31], exec, s[20:21]
	s_or_b64 s[14:15], s[30:31], s[14:15]
	s_andn2_b64 s[16:17], s[16:17], exec
	s_and_b64 s[22:23], s[22:23], exec
	s_or_b64 s[16:17], s[16:17], s[22:23]
	s_andn2_b64 exec, exec, s[14:15]
	s_cbranch_execz .LBB2_154
.LBB2_152:                              ;   Parent Loop BB2_149 Depth=1
                                        ; =>  This Inner Loop Header: Depth=2
	v_cmp_lt_i32_e32 vcc, -1, v8
	s_or_b64 s[18:19], s[18:19], exec
	s_or_b64 s[20:21], s[20:21], exec
	s_and_saveexec_b64 s[22:23], vcc
	s_cbranch_execz .LBB2_151
; %bb.153:                              ;   in Loop: Header=BB2_152 Depth=2
	v_mul_lo_u32 v9, v6, v8
	v_add_u32_e32 v8, s86, v8
	s_andn2_b64 s[20:21], s[20:21], exec
	v_subrev_u32_e32 v6, s86, v6
	v_lshrrev_b32_e32 v10, 31, v9
	v_add_lshl_u32 v9, v9, v10, 1
	v_and_b32_e32 v9, -4, v9
	v_add_u32_e32 v9, v7, v9
	ds_read_b32 v9, v9
	v_add_u32_e32 v7, s28, v7
	s_andn2_b64 s[18:19], s[18:19], exec
	s_waitcnt lgkmcnt(0)
	global_store_dword v[2:3], v9, off
	v_add_co_u32_e32 v2, vcc, s25, v2
	v_addc_co_u32_e32 v3, vcc, 0, v3, vcc
	v_cmp_gt_i32_e32 vcc, v8, v41
	s_and_b64 s[30:31], vcc, exec
	s_or_b64 s[20:21], s[20:21], s[30:31]
	s_branch .LBB2_151
.LBB2_154:                              ;   in Loop: Header=BB2_149 Depth=1
	s_or_b64 exec, exec, s[14:15]
	s_orn2_b64 s[16:17], s[16:17], exec
.LBB2_155:                              ;   in Loop: Header=BB2_149 Depth=1
	s_or_b64 exec, exec, s[12:13]
	s_mov_b64 s[12:13], -1
	s_mov_b64 s[14:15], -1
	s_and_saveexec_b64 s[18:19], s[16:17]
	s_cbranch_execz .LBB2_148
; %bb.156:                              ;   in Loop: Header=BB2_149 Depth=1
	v_add_u32_e32 v41, s40, v41
	v_cmp_le_i32_e32 vcc, s41, v41
	v_add_u32_e32 v4, s24, v4
	s_xor_b64 s[14:15], exec, -1
	s_orn2_b64 s[12:13], vcc, exec
	s_branch .LBB2_148
.LBB2_157:
	s_or_b64 exec, exec, s[8:9]
	s_mov_b64 s[60:61], exec
	s_orn2_b64 s[6:7], s[10:11], exec
.LBB2_158:
	s_or_b64 exec, exec, s[4:5]
	s_and_saveexec_b64 s[4:5], s[6:7]
	s_cbranch_execz .LBB2_98
.LBB2_159:
	s_waitcnt vmcnt(0)
	s_barrier
	s_andn2_b64 s[60:61], s[60:61], exec
	s_or_b64 exec, exec, s[4:5]
	s_and_saveexec_b64 s[4:5], s[60:61]
	s_xor_b64 s[28:29], exec, s[4:5]
	s_cbranch_execnz .LBB2_99
	s_branch .LBB2_100
	.section	.rodata,"a",@progbits
	.p2align	6, 0x0
	.amdhsa_kernel _ZN9rocsolver6v33100L18potf2_kernel_smallIfiiPfEEvbT0_T2_lS3_lPT1_
		.amdhsa_group_segment_fixed_size 0
		.amdhsa_private_segment_fixed_size 64
		.amdhsa_kernarg_size 304
		.amdhsa_user_sgpr_count 8
		.amdhsa_user_sgpr_private_segment_buffer 1
		.amdhsa_user_sgpr_dispatch_ptr 0
		.amdhsa_user_sgpr_queue_ptr 0
		.amdhsa_user_sgpr_kernarg_segment_ptr 1
		.amdhsa_user_sgpr_dispatch_id 0
		.amdhsa_user_sgpr_flat_scratch_init 1
		.amdhsa_user_sgpr_private_segment_size 0
		.amdhsa_uses_dynamic_stack 0
		.amdhsa_system_sgpr_private_segment_wavefront_offset 1
		.amdhsa_system_sgpr_workgroup_id_x 1
		.amdhsa_system_sgpr_workgroup_id_y 0
		.amdhsa_system_sgpr_workgroup_id_z 1
		.amdhsa_system_sgpr_workgroup_info 0
		.amdhsa_system_vgpr_workitem_id 2
		.amdhsa_next_free_vgpr 51
		.amdhsa_next_free_sgpr 89
		.amdhsa_reserve_vcc 1
		.amdhsa_reserve_flat_scratch 1
		.amdhsa_float_round_mode_32 0
		.amdhsa_float_round_mode_16_64 0
		.amdhsa_float_denorm_mode_32 3
		.amdhsa_float_denorm_mode_16_64 3
		.amdhsa_dx10_clamp 1
		.amdhsa_ieee_mode 1
		.amdhsa_fp16_overflow 0
		.amdhsa_exception_fp_ieee_invalid_op 0
		.amdhsa_exception_fp_denorm_src 0
		.amdhsa_exception_fp_ieee_div_zero 0
		.amdhsa_exception_fp_ieee_overflow 0
		.amdhsa_exception_fp_ieee_underflow 0
		.amdhsa_exception_fp_ieee_inexact 0
		.amdhsa_exception_int_div_zero 0
	.end_amdhsa_kernel
	.section	.text._ZN9rocsolver6v33100L18potf2_kernel_smallIfiiPfEEvbT0_T2_lS3_lPT1_,"axG",@progbits,_ZN9rocsolver6v33100L18potf2_kernel_smallIfiiPfEEvbT0_T2_lS3_lPT1_,comdat
.Lfunc_end2:
	.size	_ZN9rocsolver6v33100L18potf2_kernel_smallIfiiPfEEvbT0_T2_lS3_lPT1_, .Lfunc_end2-_ZN9rocsolver6v33100L18potf2_kernel_smallIfiiPfEEvbT0_T2_lS3_lPT1_
                                        ; -- End function
	.set _ZN9rocsolver6v33100L18potf2_kernel_smallIfiiPfEEvbT0_T2_lS3_lPT1_.num_vgpr, max(44, .L__assert_fail.num_vgpr)
	.set _ZN9rocsolver6v33100L18potf2_kernel_smallIfiiPfEEvbT0_T2_lS3_lPT1_.num_agpr, max(0, .L__assert_fail.num_agpr)
	.set _ZN9rocsolver6v33100L18potf2_kernel_smallIfiiPfEEvbT0_T2_lS3_lPT1_.numbered_sgpr, max(89, .L__assert_fail.numbered_sgpr)
	.set _ZN9rocsolver6v33100L18potf2_kernel_smallIfiiPfEEvbT0_T2_lS3_lPT1_.num_named_barrier, max(0, .L__assert_fail.num_named_barrier)
	.set _ZN9rocsolver6v33100L18potf2_kernel_smallIfiiPfEEvbT0_T2_lS3_lPT1_.private_seg_size, 0+max(.L__assert_fail.private_seg_size)
	.set _ZN9rocsolver6v33100L18potf2_kernel_smallIfiiPfEEvbT0_T2_lS3_lPT1_.uses_vcc, or(1, .L__assert_fail.uses_vcc)
	.set _ZN9rocsolver6v33100L18potf2_kernel_smallIfiiPfEEvbT0_T2_lS3_lPT1_.uses_flat_scratch, or(1, .L__assert_fail.uses_flat_scratch)
	.set _ZN9rocsolver6v33100L18potf2_kernel_smallIfiiPfEEvbT0_T2_lS3_lPT1_.has_dyn_sized_stack, or(0, .L__assert_fail.has_dyn_sized_stack)
	.set _ZN9rocsolver6v33100L18potf2_kernel_smallIfiiPfEEvbT0_T2_lS3_lPT1_.has_recursion, or(0, .L__assert_fail.has_recursion)
	.set _ZN9rocsolver6v33100L18potf2_kernel_smallIfiiPfEEvbT0_T2_lS3_lPT1_.has_indirect_call, or(0, .L__assert_fail.has_indirect_call)
	.section	.AMDGPU.csdata,"",@progbits
; Kernel info:
; codeLenInByte = 5740
; TotalNumSgprs: 95
; NumVgprs: 51
; ScratchSize: 64
; MemoryBound: 0
; FloatMode: 240
; IeeeMode: 1
; LDSByteSize: 0 bytes/workgroup (compile time only)
; SGPRBlocks: 11
; VGPRBlocks: 12
; NumSGPRsForWavesPerEU: 95
; NumVGPRsForWavesPerEU: 51
; Occupancy: 4
; WaveLimiterHint : 1
; COMPUTE_PGM_RSRC2:SCRATCH_EN: 1
; COMPUTE_PGM_RSRC2:USER_SGPR: 8
; COMPUTE_PGM_RSRC2:TRAP_HANDLER: 0
; COMPUTE_PGM_RSRC2:TGID_X_EN: 1
; COMPUTE_PGM_RSRC2:TGID_Y_EN: 0
; COMPUTE_PGM_RSRC2:TGID_Z_EN: 1
; COMPUTE_PGM_RSRC2:TIDIG_COMP_CNT: 2
	.section	.text._ZN9rocsolver6v33100L18potf2_kernel_smallIfiiPKPfEEvbT0_T2_lS5_lPT1_,"axG",@progbits,_ZN9rocsolver6v33100L18potf2_kernel_smallIfiiPKPfEEvbT0_T2_lS5_lPT1_,comdat
	.globl	_ZN9rocsolver6v33100L18potf2_kernel_smallIfiiPKPfEEvbT0_T2_lS5_lPT1_ ; -- Begin function _ZN9rocsolver6v33100L18potf2_kernel_smallIfiiPKPfEEvbT0_T2_lS5_lPT1_
	.p2align	8
	.type	_ZN9rocsolver6v33100L18potf2_kernel_smallIfiiPKPfEEvbT0_T2_lS5_lPT1_,@function
_ZN9rocsolver6v33100L18potf2_kernel_smallIfiiPKPfEEvbT0_T2_lS5_lPT1_: ; @_ZN9rocsolver6v33100L18potf2_kernel_smallIfiiPKPfEEvbT0_T2_lS5_lPT1_
; %bb.0:
	s_load_dwordx2 s[34:35], s[4:5], 0x3c
	s_add_u32 flat_scratch_lo, s6, s10
	s_addc_u32 flat_scratch_hi, s7, 0
	s_add_u32 s0, s0, s10
	s_addc_u32 s1, s1, 0
	s_mov_b64 s[26:27], s[4:5]
	s_waitcnt lgkmcnt(0)
	s_and_b32 s4, s35, 0xffff
	s_mov_b32 s50, s9
	v_mov_b32_e32 v43, v2
	v_mov_b32_e32 v41, v1
	;; [unrolled: 1-line block ×3, first 2 shown]
	s_cmp_eq_u32 s4, 1
	s_mov_b32 s32, 0
	s_cbranch_scc1 .LBB3_2
; %bb.1:
	s_add_u32 s8, s26, 48
	s_addc_u32 s9, s27, 0
	s_getpc_b64 s[4:5]
	s_add_u32 s4, s4, .str@rel32@lo+4
	s_addc_u32 s5, s5, .str@rel32@hi+12
	s_getpc_b64 s[6:7]
	s_add_u32 s6, s6, __PRETTY_FUNCTION__._ZN9rocsolver6v33100L18potf2_kernel_smallIfiiPKPfEEvbT0_T2_lS5_lPT1_@rel32@lo+4
	s_addc_u32 s7, s7, __PRETTY_FUNCTION__._ZN9rocsolver6v33100L18potf2_kernel_smallIfiiPKPfEEvbT0_T2_lS5_lPT1_@rel32@hi+12
	s_getpc_b64 s[10:11]
	s_add_u32 s10, s10, __assert_fail@rel32@lo+4
	s_addc_u32 s11, s11, __assert_fail@rel32@hi+12
	v_mov_b32_e32 v0, s4
	v_mov_b32_e32 v1, s5
	;; [unrolled: 1-line block ×5, first 2 shown]
	s_swappc_b64 s[30:31], s[10:11]
	s_mov_b64 s[36:37], -1
	s_cbranch_execz .LBB3_3
	s_branch .LBB3_114
.LBB3_2:
	s_mov_b64 s[36:37], 0
.LBB3_3:
	s_load_dwordx4 s[4:7], s[26:27], 0x8
	s_waitcnt lgkmcnt(0)
	s_cmp_lg_u64 s[4:5], 0
	s_cbranch_scc0 .LBB3_9
; %bb.4:
	s_load_dwordx2 s[52:53], s[26:27], 0x28
	s_waitcnt lgkmcnt(0)
	s_cmp_lg_u64 s[52:53], 0
	s_cbranch_scc0 .LBB3_10
; %bb.5:
	s_mov_b32 s51, 0
	s_lshl_b64 s[8:9], s[50:51], 3
	s_add_u32 s4, s4, s8
	s_addc_u32 s5, s5, s9
	v_mov_b32_e32 v0, 0
	global_load_dwordx2 v[44:45], v0, s[4:5]
	s_mov_b64 s[8:9], 0
	s_waitcnt vmcnt(0)
	v_cmp_ne_u64_e32 vcc, 0, v[44:45]
	s_cbranch_vccz .LBB3_11
; %bb.6:
	s_load_dwordx2 s[38:39], s[26:27], 0x0
	s_load_dword s42, s[26:27], 0x18
	s_lshl_b64 s[40:41], s[6:7], 2
	v_mov_b32_e32 v0, s41
	v_add_co_u32_e64 v44, s[28:29], s40, v44
	s_waitcnt lgkmcnt(0)
	s_bitcmp1_b32 s38, 0
	s_cselect_b64 s[6:7], -1, 0
	v_addc_co_u32_e64 v46, vcc, v45, v0, s[28:29]
	s_xor_b64 s[48:49], s[6:7], -1
	s_mov_b64 s[4:5], -1
	s_lshr_b32 s38, s34, 16
	s_and_b32 s40, s34, 0xffff
	v_cmp_gt_i32_e64 s[34:35], s39, v41
	s_and_b64 vcc, exec, s[48:49]
	s_barrier
	s_cbranch_vccnz .LBB3_12
; %bb.7:
	s_mov_b64 s[44:45], 0
	s_and_b64 vcc, exec, s[4:5]
	s_cbranch_vccnz .LBB3_39
.LBB3_8:
	s_and_saveexec_b64 s[46:47], s[8:9]
	s_cbranch_execnz .LBB3_52
	s_branch .LBB3_106
.LBB3_9:
	s_cbranch_execnz .LBB3_113
	s_branch .LBB3_114
.LBB3_10:
	s_cbranch_execnz .LBB3_111
	s_branch .LBB3_112
.LBB3_11:
	s_cbranch_execnz .LBB3_109
	s_branch .LBB3_110
.LBB3_12:
	s_mov_b64 s[8:9], -1
	s_and_saveexec_b64 s[44:45], s[34:35]
	s_cbranch_execz .LBB3_38
; %bb.13:
	s_lshl_b32 s4, s39, 1
	s_or_b32 s33, s4, 1
	v_add_u32_e32 v2, v41, v42
	v_lshl_add_u32 v3, v42, 2, 0
	s_lshl_b32 s43, s40, 2
	s_mov_b64 s[14:15], 0
	v_mov_b32_e32 v4, v41
                                        ; implicit-def: $sgpr12_sgpr13
                                        ; implicit-def: $sgpr10_sgpr11
                                        ; implicit-def: $sgpr8_sgpr9
                                        ; implicit-def: $sgpr16_sgpr17
	s_branch .LBB3_15
.LBB3_14:                               ;   in Loop: Header=BB3_15 Depth=1
	s_or_b64 exec, exec, s[22:23]
	s_xor_b64 s[6:7], s[20:21], -1
	s_xor_b64 s[18:19], s[18:19], -1
	s_and_b64 s[4:5], exec, s[4:5]
	s_or_b64 s[14:15], s[4:5], s[14:15]
	s_andn2_b64 s[4:5], s[8:9], exec
	s_and_b64 s[8:9], s[16:17], exec
	s_or_b64 s[8:9], s[4:5], s[8:9]
	s_andn2_b64 s[4:5], s[10:11], exec
	s_and_b64 s[6:7], s[6:7], exec
	;; [unrolled: 3-line block ×3, first 2 shown]
	s_or_b64 s[12:13], s[4:5], s[6:7]
	s_andn2_b64 exec, exec, s[14:15]
	s_cbranch_execz .LBB3_27
.LBB3_15:                               ; =>This Loop Header: Depth=1
                                        ;     Child Loop BB3_20 Depth 2
	v_add_u32_e32 v0, v4, v42
	v_cmp_gt_i32_e32 vcc, s39, v0
	s_mov_b64 s[6:7], -1
                                        ; implicit-def: $sgpr18_sgpr19
                                        ; implicit-def: $sgpr20_sgpr21
                                        ; implicit-def: $sgpr24_sgpr25
	s_and_saveexec_b64 s[22:23], vcc
	s_cbranch_execz .LBB3_25
; %bb.16:                               ;   in Loop: Header=BB3_15 Depth=1
	v_sub_u32_e32 v1, s33, v4
	v_mad_i64_i32 v[5:6], s[4:5], v4, s42, 0
	v_mul_lo_u32 v1, v1, v4
	v_cmp_lt_i32_e32 vcc, -1, v4
	v_lshlrev_b64 v[5:6], 2, v[5:6]
	s_mov_b64 s[30:31], 0
	v_lshrrev_b32_e32 v7, 31, v1
	v_add_co_u32_e64 v5, s[4:5], v44, v5
	v_add_lshl_u32 v1, v1, v7, 1
	v_addc_co_u32_e64 v6, s[4:5], v46, v6, s[4:5]
	v_and_b32_e32 v1, -4, v1
	v_cmp_ge_u32_e64 s[4:5], v2, v4
	v_add_u32_e32 v7, v3, v1
                                        ; implicit-def: $sgpr46_sgpr47
                                        ; implicit-def: $sgpr24_sgpr25
                                        ; implicit-def: $sgpr20_sgpr21
                                        ; implicit-def: $sgpr18_sgpr19
                                        ; implicit-def: $sgpr54_sgpr55
                                        ; implicit-def: $sgpr58_sgpr59
                                        ; implicit-def: $sgpr60_sgpr61
                                        ; implicit-def: $sgpr56_sgpr57
                                        ; implicit-def: $sgpr62_sgpr63
	s_branch .LBB3_20
.LBB3_17:                               ;   in Loop: Header=BB3_20 Depth=2
	s_or_b64 exec, exec, s[68:69]
	s_mov_b64 s[6:7], exec
	s_orn2_b64 s[72:73], s[70:71], exec
	s_xor_b64 s[70:71], exec, -1
	s_orn2_b64 s[68:69], s[74:75], exec
.LBB3_18:                               ;   in Loop: Header=BB3_20 Depth=2
	s_or_b64 exec, exec, s[66:67]
	s_andn2_b64 s[62:63], s[62:63], exec
	s_and_b64 s[66:67], s[72:73], exec
	s_andn2_b64 s[58:59], s[58:59], exec
	s_and_b64 s[6:7], s[6:7], exec
	s_or_b64 s[62:63], s[62:63], s[66:67]
	s_andn2_b64 s[60:61], s[60:61], exec
	s_and_b64 s[66:67], s[70:71], exec
	s_or_b64 s[58:59], s[58:59], s[6:7]
	s_andn2_b64 s[6:7], s[54:55], exec
	s_and_b64 s[54:55], s[68:69], exec
	s_andn2_b64 s[56:57], s[56:57], exec
	s_or_b64 s[60:61], s[60:61], s[66:67]
	s_or_b64 s[54:55], s[6:7], s[54:55]
.LBB3_19:                               ;   in Loop: Header=BB3_20 Depth=2
	s_or_b64 exec, exec, s[64:65]
	s_xor_b64 s[6:7], s[62:63], -1
	s_and_b64 s[64:65], exec, s[54:55]
	s_or_b64 s[30:31], s[64:65], s[30:31]
	s_andn2_b64 s[18:19], s[18:19], exec
	s_and_b64 s[64:65], s[56:57], exec
	s_or_b64 s[18:19], s[18:19], s[64:65]
	s_andn2_b64 s[20:21], s[20:21], exec
	s_and_b64 s[64:65], s[60:61], exec
	;; [unrolled: 3-line block ×3, first 2 shown]
	s_andn2_b64 s[46:47], s[46:47], exec
	s_and_b64 s[6:7], s[6:7], exec
	s_or_b64 s[24:25], s[24:25], s[64:65]
	s_or_b64 s[46:47], s[46:47], s[6:7]
	s_andn2_b64 exec, exec, s[30:31]
	s_cbranch_execz .LBB3_24
.LBB3_20:                               ;   Parent Loop BB3_15 Depth=1
                                        ; =>  This Inner Loop Header: Depth=2
	v_cmp_lt_i32_e64 s[6:7], -1, v0
	s_or_b64 s[62:63], s[62:63], exec
	s_or_b64 s[56:57], s[56:57], exec
	s_andn2_b64 s[60:61], s[60:61], exec
	s_andn2_b64 s[58:59], s[58:59], exec
	s_or_b64 s[54:55], s[54:55], exec
	s_and_saveexec_b64 s[64:65], s[6:7]
	s_cbranch_execz .LBB3_19
; %bb.21:                               ;   in Loop: Header=BB3_20 Depth=2
	s_mov_b64 s[6:7], 0
	s_mov_b64 s[68:69], -1
	s_mov_b64 s[70:71], -1
	s_mov_b64 s[72:73], -1
	s_and_saveexec_b64 s[66:67], vcc
	s_cbranch_execz .LBB3_18
; %bb.22:                               ;   in Loop: Header=BB3_20 Depth=2
	s_mov_b64 s[74:75], -1
	s_and_saveexec_b64 s[68:69], s[4:5]
	s_cbranch_execz .LBB3_17
; %bb.23:                               ;   in Loop: Header=BB3_20 Depth=2
	v_ashrrev_i32_e32 v1, 31, v0
	v_lshlrev_b64 v[8:9], 2, v[0:1]
	v_add_u32_e32 v0, s40, v0
	v_add_co_u32_e64 v8, s[6:7], v5, v8
	v_addc_co_u32_e64 v9, s[6:7], v6, v9, s[6:7]
	flat_load_dword v1, v[8:9]
	v_cmp_le_i32_e64 s[6:7], s39, v0
	s_xor_b64 s[70:71], exec, -1
	s_orn2_b64 s[74:75], s[6:7], exec
	s_waitcnt vmcnt(0) lgkmcnt(0)
	ds_write_b32 v7, v1
	v_add_u32_e32 v7, s43, v7
	s_branch .LBB3_17
.LBB3_24:                               ;   in Loop: Header=BB3_15 Depth=1
	s_or_b64 exec, exec, s[30:31]
	s_orn2_b64 s[6:7], s[46:47], exec
.LBB3_25:                               ;   in Loop: Header=BB3_15 Depth=1
	s_or_b64 exec, exec, s[22:23]
	s_andn2_b64 s[16:17], s[16:17], exec
	s_and_b64 s[22:23], s[24:25], exec
	s_mov_b64 s[4:5], -1
	s_or_b64 s[16:17], s[16:17], s[22:23]
	s_and_saveexec_b64 s[22:23], s[6:7]
	s_cbranch_execz .LBB3_14
; %bb.26:                               ;   in Loop: Header=BB3_15 Depth=1
	v_add_u32_e32 v4, s38, v4
	v_cmp_le_i32_e32 vcc, s39, v4
	v_add_u32_e32 v2, s38, v2
	s_andn2_b64 s[16:17], s[16:17], exec
	s_andn2_b64 s[20:21], s[20:21], exec
	;; [unrolled: 1-line block ×3, first 2 shown]
	s_orn2_b64 s[4:5], vcc, exec
	s_branch .LBB3_14
.LBB3_27:
	s_or_b64 exec, exec, s[14:15]
	s_mov_b64 s[54:55], 0
	s_mov_b64 s[58:59], s[36:37]
	s_and_saveexec_b64 s[4:5], s[12:13]
	s_xor_b64 s[46:47], exec, s[4:5]
	s_cbranch_execz .LBB3_35
; %bb.28:
	s_mov_b64 s[56:57], 0
	s_mov_b64 s[58:59], s[36:37]
	s_and_saveexec_b64 s[4:5], s[10:11]
	s_xor_b64 s[54:55], exec, s[4:5]
	s_cbranch_execz .LBB3_32
; %bb.29:
	s_mov_b64 s[4:5], -1
	s_mov_b64 s[6:7], s[36:37]
	s_and_saveexec_b64 s[10:11], s[8:9]
	s_xor_b64 s[56:57], exec, s[10:11]
	s_cbranch_execz .LBB3_31
; %bb.30:
	s_add_u32 s8, s26, 48
	s_addc_u32 s9, s27, 0
	s_getpc_b64 s[4:5]
	s_add_u32 s4, s4, .str.10@rel32@lo+4
	s_addc_u32 s5, s5, .str.10@rel32@hi+12
	s_getpc_b64 s[6:7]
	s_add_u32 s6, s6, __PRETTY_FUNCTION__._ZN9rocsolver6v33100L9idx_lowerIiEET_S2_S2_S2_@rel32@lo+4
	s_addc_u32 s7, s7, __PRETTY_FUNCTION__._ZN9rocsolver6v33100L9idx_lowerIiEET_S2_S2_S2_@rel32@hi+12
	s_getpc_b64 s[10:11]
	s_add_u32 s10, s10, __assert_fail@rel32@lo+4
	s_addc_u32 s11, s11, __assert_fail@rel32@hi+12
	v_mov_b32_e32 v0, s4
	v_mov_b32_e32 v1, s5
	;; [unrolled: 1-line block ×5, first 2 shown]
	s_swappc_b64 s[30:31], s[10:11]
	s_or_b64 s[6:7], s[36:37], exec
	s_xor_b64 s[4:5], exec, -1
.LBB3_31:
	s_or_b64 exec, exec, s[56:57]
	s_andn2_b64 s[8:9], s[36:37], exec
	s_and_b64 s[6:7], s[6:7], exec
	s_or_b64 s[58:59], s[8:9], s[6:7]
	s_and_b64 s[56:57], s[4:5], exec
.LBB3_32:
	s_andn2_saveexec_b64 s[54:55], s[54:55]
	s_cbranch_execz .LBB3_34
; %bb.33:
	s_add_u32 s8, s26, 48
	s_addc_u32 s9, s27, 0
	s_getpc_b64 s[4:5]
	s_add_u32 s4, s4, .str.9@rel32@lo+4
	s_addc_u32 s5, s5, .str.9@rel32@hi+12
	s_getpc_b64 s[6:7]
	s_add_u32 s6, s6, __PRETTY_FUNCTION__._ZN9rocsolver6v33100L9idx_lowerIiEET_S2_S2_S2_@rel32@lo+4
	s_addc_u32 s7, s7, __PRETTY_FUNCTION__._ZN9rocsolver6v33100L9idx_lowerIiEET_S2_S2_S2_@rel32@hi+12
	s_getpc_b64 s[10:11]
	s_add_u32 s10, s10, __assert_fail@rel32@lo+4
	s_addc_u32 s11, s11, __assert_fail@rel32@hi+12
	v_mov_b32_e32 v0, s4
	v_mov_b32_e32 v1, s5
	;; [unrolled: 1-line block ×5, first 2 shown]
	s_swappc_b64 s[30:31], s[10:11]
	s_or_b64 s[58:59], s[58:59], exec
.LBB3_34:
	s_or_b64 exec, exec, s[54:55]
	s_andn2_b64 s[4:5], s[36:37], exec
	s_and_b64 s[6:7], s[58:59], exec
	s_or_b64 s[58:59], s[4:5], s[6:7]
	s_and_b64 s[54:55], s[56:57], exec
.LBB3_35:
	s_andn2_saveexec_b64 s[46:47], s[46:47]
	s_cbranch_execz .LBB3_37
; %bb.36:
	s_add_u32 s8, s26, 48
	s_addc_u32 s9, s27, 0
	s_getpc_b64 s[4:5]
	s_add_u32 s4, s4, .str.8@rel32@lo+4
	s_addc_u32 s5, s5, .str.8@rel32@hi+12
	s_getpc_b64 s[6:7]
	s_add_u32 s6, s6, __PRETTY_FUNCTION__._ZN9rocsolver6v33100L9idx_lowerIiEET_S2_S2_S2_@rel32@lo+4
	s_addc_u32 s7, s7, __PRETTY_FUNCTION__._ZN9rocsolver6v33100L9idx_lowerIiEET_S2_S2_S2_@rel32@hi+12
	s_getpc_b64 s[10:11]
	s_add_u32 s10, s10, __assert_fail@rel32@lo+4
	s_addc_u32 s11, s11, __assert_fail@rel32@hi+12
	v_mov_b32_e32 v0, s4
	v_mov_b32_e32 v1, s5
	;; [unrolled: 1-line block ×5, first 2 shown]
	s_swappc_b64 s[30:31], s[10:11]
	s_or_b64 s[58:59], s[58:59], exec
.LBB3_37:
	s_or_b64 exec, exec, s[46:47]
	s_andn2_b64 s[4:5], s[36:37], exec
	s_and_b64 s[6:7], s[58:59], exec
	s_or_b64 s[36:37], s[4:5], s[6:7]
	s_orn2_b64 s[8:9], s[54:55], exec
.LBB3_38:
	s_or_b64 exec, exec, s[44:45]
	s_mov_b64 s[44:45], 0
	s_branch .LBB3_8
.LBB3_39:
	s_mov_b64 s[8:9], -1
	s_and_saveexec_b64 s[4:5], s[34:35]
	s_cbranch_execz .LBB3_51
; %bb.40:
	v_lshlrev_b32_e32 v0, 2, v41
	v_lshlrev_b32_e32 v1, 2, v42
	s_lshl_b32 s6, s39, 1
	v_sub_u32_e32 v0, v0, v1
	v_add_u32_e32 v4, 0, v0
	v_sub_u32_e32 v0, s6, v42
	v_add_u32_e32 v5, 1, v0
	v_mov_b32_e32 v0, s41
	v_addc_co_u32_e64 v2, vcc, v45, v0, s[28:29]
	s_ashr_i32 s43, s42, 31
	s_lshl_b32 s25, s40, 2
	v_add_co_u32_e32 v0, vcc, v44, v1
	s_lshl_b32 s24, s38, 2
	s_sub_i32 s30, 0, s25
	v_addc_co_u32_e32 v1, vcc, 0, v2, vcc
	s_lshl_b64 s[6:7], s[42:43], 2
	s_mov_b64 s[8:9], 0
	v_mov_b32_e32 v6, v41
                                        ; implicit-def: $sgpr10_sgpr11
	s_branch .LBB3_42
.LBB3_41:                               ;   in Loop: Header=BB3_42 Depth=1
	s_or_b64 exec, exec, s[18:19]
	s_xor_b64 s[14:15], s[14:15], -1
	s_and_b64 s[12:13], exec, s[12:13]
	s_or_b64 s[8:9], s[12:13], s[8:9]
	s_andn2_b64 s[10:11], s[10:11], exec
	s_and_b64 s[12:13], s[14:15], exec
	s_or_b64 s[10:11], s[10:11], s[12:13]
	s_andn2_b64 exec, exec, s[8:9]
	s_cbranch_execz .LBB3_50
.LBB3_42:                               ; =>This Loop Header: Depth=1
                                        ;     Child Loop BB3_45 Depth 2
	v_cmp_le_i32_e32 vcc, v42, v6
	s_mov_b64 s[16:17], -1
	s_and_saveexec_b64 s[12:13], vcc
	s_cbranch_execz .LBB3_48
; %bb.43:                               ;   in Loop: Header=BB3_42 Depth=1
	v_mad_u64_u32 v[2:3], s[14:15], s6, v6, v[0:1]
	v_mov_b32_e32 v7, v5
	v_mov_b32_e32 v8, v4
	v_mad_u64_u32 v[9:10], s[14:15], s7, v6, v[3:4]
	s_mov_b64 s[14:15], 0
                                        ; implicit-def: $sgpr16_sgpr17
                                        ; implicit-def: $sgpr20_sgpr21
                                        ; implicit-def: $sgpr18_sgpr19
	v_mov_b32_e32 v3, v9
	v_mov_b32_e32 v9, v42
	s_branch .LBB3_45
.LBB3_44:                               ;   in Loop: Header=BB3_45 Depth=2
	s_or_b64 exec, exec, s[22:23]
	s_xor_b64 s[22:23], s[18:19], -1
	s_and_b64 s[44:45], exec, s[20:21]
	s_or_b64 s[14:15], s[44:45], s[14:15]
	s_andn2_b64 s[16:17], s[16:17], exec
	s_and_b64 s[22:23], s[22:23], exec
	s_or_b64 s[16:17], s[16:17], s[22:23]
	s_andn2_b64 exec, exec, s[14:15]
	s_cbranch_execz .LBB3_47
.LBB3_45:                               ;   Parent Loop BB3_42 Depth=1
                                        ; =>  This Inner Loop Header: Depth=2
	v_cmp_lt_i32_e32 vcc, -1, v9
	s_or_b64 s[18:19], s[18:19], exec
	s_or_b64 s[20:21], s[20:21], exec
	s_and_saveexec_b64 s[22:23], vcc
	s_cbranch_execz .LBB3_44
; %bb.46:                               ;   in Loop: Header=BB3_45 Depth=2
	flat_load_dword v10, v[2:3]
	v_mul_lo_u32 v11, v7, v9
	v_add_co_u32_e32 v2, vcc, s25, v2
	v_add_u32_e32 v9, s40, v9
	v_addc_co_u32_e32 v3, vcc, 0, v3, vcc
	v_lshrrev_b32_e32 v12, 31, v11
	v_cmp_gt_i32_e32 vcc, v9, v6
	v_add_lshl_u32 v11, v11, v12, 1
	s_andn2_b64 s[20:21], s[20:21], exec
	s_and_b64 s[44:45], vcc, exec
	v_and_b32_e32 v11, -4, v11
	v_subrev_u32_e32 v7, s40, v7
	s_andn2_b64 s[18:19], s[18:19], exec
	v_add_u32_e32 v11, v8, v11
	v_add_u32_e32 v8, s30, v8
	s_or_b64 s[20:21], s[20:21], s[44:45]
	s_waitcnt vmcnt(0) lgkmcnt(0)
	ds_write_b32 v11, v10
	s_branch .LBB3_44
.LBB3_47:                               ;   in Loop: Header=BB3_42 Depth=1
	s_or_b64 exec, exec, s[14:15]
	s_orn2_b64 s[16:17], s[16:17], exec
.LBB3_48:                               ;   in Loop: Header=BB3_42 Depth=1
	s_or_b64 exec, exec, s[12:13]
	s_mov_b64 s[12:13], -1
	s_mov_b64 s[14:15], -1
	s_and_saveexec_b64 s[18:19], s[16:17]
	s_cbranch_execz .LBB3_41
; %bb.49:                               ;   in Loop: Header=BB3_42 Depth=1
	v_add_u32_e32 v6, s38, v6
	v_cmp_le_i32_e32 vcc, s39, v6
	v_add_u32_e32 v4, s24, v4
	s_xor_b64 s[14:15], exec, -1
	s_orn2_b64 s[12:13], vcc, exec
	s_branch .LBB3_41
.LBB3_50:
	s_or_b64 exec, exec, s[8:9]
	s_mov_b64 s[44:45], exec
	s_orn2_b64 s[8:9], s[10:11], exec
.LBB3_51:
	s_or_b64 exec, exec, s[4:5]
	s_and_saveexec_b64 s[46:47], s[8:9]
	s_cbranch_execz .LBB3_106
.LBB3_52:
	s_cmp_gt_i32 s39, 0
	s_mov_b32 s33, 0
	s_waitcnt lgkmcnt(0)
	s_barrier
	s_cbranch_scc0 .LBB3_94
; %bb.53:
	s_mul_i32 s43, s38, s40
	v_mul_lo_u32 v0, s43, v43
	s_lshl_b64 s[4:5], s[50:51], 2
	v_mul_u32_u24_e32 v1, s40, v41
	s_add_u32 s12, s52, s4
	v_add3_u32 v0, v1, v42, v0
	s_addc_u32 s13, s53, s5
	s_lshl_b32 s4, s39, 1
	v_lshlrev_b32_e32 v2, 2, v41
	s_or_b32 s68, s4, 1
	v_cmp_eq_u32_e64 s[4:5], 0, v0
	s_lshl_b32 s69, s43, 2
	v_lshl_add_u32 v1, v42, 2, 0
	s_lshl_b32 s70, s40, 2
	v_sub_u32_e32 v2, 0, v2
	s_lshl_b32 s71, s38, 2
	s_mov_b64 s[16:17], 0
	v_mov_b32_e32 v3, 0x180
	v_mov_b32_e32 v4, 0
	s_mov_b32 s72, 0xf800000
	v_mov_b32_e32 v5, 0x260
                                        ; implicit-def: $sgpr18_sgpr19
                                        ; implicit-def: $sgpr14_sgpr15
                                        ; implicit-def: $sgpr10_sgpr11
	s_branch .LBB3_55
.LBB3_54:                               ;   in Loop: Header=BB3_55 Depth=1
	s_or_b64 exec, exec, s[50:51]
	s_xor_b64 s[6:7], s[8:9], -1
	s_xor_b64 s[8:9], s[24:25], -1
	s_xor_b64 s[20:21], s[22:23], -1
	s_and_b64 s[22:23], exec, s[30:31]
	s_or_b64 s[16:17], s[22:23], s[16:17]
	s_andn2_b64 s[10:11], s[10:11], exec
	s_and_b64 s[6:7], s[6:7], exec
	s_or_b64 s[10:11], s[10:11], s[6:7]
	s_andn2_b64 s[6:7], s[14:15], exec
	s_and_b64 s[8:9], s[8:9], exec
	;; [unrolled: 3-line block ×3, first 2 shown]
	s_or_b64 s[18:19], s[6:7], s[8:9]
	s_andn2_b64 exec, exec, s[16:17]
	s_cbranch_execz .LBB3_89
.LBB3_55:                               ; =>This Loop Header: Depth=1
                                        ;     Child Loop BB3_67 Depth 2
                                        ;     Child Loop BB3_77 Depth 2
                                        ;       Child Loop BB3_81 Depth 3
	s_sub_i32 s6, s68, s33
	s_mul_i32 s6, s6, s33
	s_lshr_b32 s7, s6, 31
	s_add_i32 s6, s6, s7
	s_ashr_i32 s50, s6, 1
	s_lshl_b32 s73, s50, 2
	s_add_i32 s74, s73, 0
	v_mov_b32_e32 v6, s74
	ds_read_b32 v6, v6
	s_mov_b64 s[20:21], 0
	s_mov_b64 s[8:9], -1
	s_waitcnt lgkmcnt(0)
	v_cmp_class_f32_e64 s[6:7], v6, v3
	s_and_b64 vcc, exec, s[6:7]
	s_cbranch_vccnz .LBB3_60
; %bb.56:                               ;   in Loop: Header=BB3_55 Depth=1
	s_and_saveexec_b64 s[8:9], s[4:5]
	s_cbranch_execz .LBB3_59
; %bb.57:                               ;   in Loop: Header=BB3_55 Depth=1
	global_load_dword v7, v4, s[12:13]
	s_waitcnt vmcnt(0)
	v_cmp_ne_u32_e32 vcc, 0, v7
	s_cbranch_vccnz .LBB3_59
; %bb.58:                               ;   in Loop: Header=BB3_55 Depth=1
	s_add_i32 s20, s33, 1
	v_mov_b32_e32 v7, s20
	global_store_dword v4, v7, s[12:13]
.LBB3_59:                               ;   in Loop: Header=BB3_55 Depth=1
	s_or_b64 exec, exec, s[8:9]
	s_mov_b64 s[8:9], 0
	s_mov_b64 s[20:21], -1
.LBB3_60:                               ;   in Loop: Header=BB3_55 Depth=1
	s_andn2_b64 vcc, exec, s[8:9]
	s_cbranch_vccnz .LBB3_70
; %bb.61:                               ;   in Loop: Header=BB3_55 Depth=1
	v_mul_f32_e32 v7, 0x4f800000, v6
	v_cmp_gt_f32_e32 vcc, s72, v6
	v_cndmask_b32_e32 v6, v6, v7, vcc
	v_sqrt_f32_e32 v7, v6
	v_add_u32_e32 v8, -1, v7
	v_fma_f32 v10, -v8, v7, v6
	v_add_u32_e32 v9, 1, v7
	v_cmp_ge_f32_e64 s[8:9], 0, v10
	v_cndmask_b32_e64 v8, v7, v8, s[8:9]
	v_fma_f32 v7, -v9, v7, v6
	v_cmp_lt_f32_e64 s[8:9], 0, v7
	v_cndmask_b32_e64 v7, v8, v9, s[8:9]
	v_mul_f32_e32 v8, 0x37800000, v7
	v_cndmask_b32_e32 v7, v7, v8, vcc
	v_cmp_class_f32_e32 vcc, v6, v5
	v_cndmask_b32_e32 v6, v7, v6, vcc
	s_and_saveexec_b64 s[8:9], s[4:5]
; %bb.62:                               ;   in Loop: Header=BB3_55 Depth=1
	v_mov_b32_e32 v7, s74
	ds_write_b32 v7, v6
; %bb.63:                               ;   in Loop: Header=BB3_55 Depth=1
	s_or_b64 exec, exec, s[8:9]
	s_add_i32 s75, s33, 1
	v_add_u32_e32 v7, s75, v0
	v_cmp_gt_i32_e32 vcc, s39, v7
	s_mov_b64 s[30:31], -1
	s_waitcnt vmcnt(0) lgkmcnt(0)
	s_barrier
                                        ; implicit-def: $sgpr22_sgpr23
                                        ; implicit-def: $sgpr24_sgpr25
	s_and_saveexec_b64 s[8:9], vcc
	s_cbranch_execz .LBB3_72
; %bb.64:                               ;   in Loop: Header=BB3_55 Depth=1
	v_add_lshl_u32 v8, v0, s50, 2
	v_add3_u32 v8, 0, 4, v8
	s_mov_b64 s[30:31], 0
                                        ; implicit-def: $sgpr50_sgpr51
                                        ; implicit-def: $sgpr24_sgpr25
                                        ; implicit-def: $sgpr22_sgpr23
                                        ; implicit-def: $sgpr56_sgpr57
                                        ; implicit-def: $sgpr52_sgpr53
                                        ; implicit-def: $sgpr54_sgpr55
                                        ; implicit-def: $sgpr58_sgpr59
	s_branch .LBB3_67
.LBB3_65:                               ;   in Loop: Header=BB3_67 Depth=2
	s_or_b64 exec, exec, s[62:63]
	s_andn2_b64 s[58:59], s[58:59], exec
	s_and_b64 s[62:63], s[66:67], exec
	s_or_b64 s[58:59], s[58:59], s[62:63]
	s_andn2_b64 s[56:57], s[56:57], exec
	s_and_b64 s[62:63], s[64:65], exec
	s_andn2_b64 s[54:55], s[54:55], exec
	s_or_b64 s[52:53], s[52:53], exec
	s_or_b64 s[56:57], s[56:57], s[62:63]
.LBB3_66:                               ;   in Loop: Header=BB3_67 Depth=2
	s_or_b64 exec, exec, s[60:61]
	s_xor_b64 s[60:61], s[58:59], -1
	s_and_b64 s[62:63], exec, s[56:57]
	s_or_b64 s[30:31], s[62:63], s[30:31]
	s_andn2_b64 s[22:23], s[22:23], exec
	s_and_b64 s[62:63], s[54:55], exec
	s_or_b64 s[22:23], s[22:23], s[62:63]
	s_andn2_b64 s[24:25], s[24:25], exec
	s_and_b64 s[62:63], s[52:53], exec
	s_andn2_b64 s[50:51], s[50:51], exec
	s_and_b64 s[60:61], s[60:61], exec
	s_or_b64 s[24:25], s[24:25], s[62:63]
	s_or_b64 s[50:51], s[50:51], s[60:61]
	s_andn2_b64 exec, exec, s[30:31]
	s_cbranch_execz .LBB3_71
.LBB3_67:                               ;   Parent Loop BB3_55 Depth=1
                                        ; =>  This Inner Loop Header: Depth=2
	v_cmp_lt_i32_e32 vcc, -1, v7
	s_or_b64 s[58:59], s[58:59], exec
	s_or_b64 s[54:55], s[54:55], exec
	s_andn2_b64 s[52:53], s[52:53], exec
	s_or_b64 s[56:57], s[56:57], exec
	s_and_saveexec_b64 s[60:61], vcc
	s_cbranch_execz .LBB3_66
; %bb.68:                               ;   in Loop: Header=BB3_67 Depth=2
	v_cmp_le_u32_e32 vcc, s33, v7
	s_mov_b64 s[64:65], -1
	s_mov_b64 s[66:67], -1
	s_and_saveexec_b64 s[62:63], vcc
	s_cbranch_execz .LBB3_65
; %bb.69:                               ;   in Loop: Header=BB3_67 Depth=2
	ds_read_b32 v9, v8
	v_add_u32_e32 v7, s43, v7
	s_xor_b64 s[66:67], exec, -1
	s_waitcnt lgkmcnt(0)
	v_div_scale_f32 v10, s[64:65], v6, v6, v9
	v_div_scale_f32 v11, vcc, v9, v6, v9
	v_rcp_f32_e32 v12, v10
	v_fma_f32 v13, -v10, v12, 1.0
	v_fmac_f32_e32 v12, v13, v12
	v_mul_f32_e32 v13, v11, v12
	v_fma_f32 v14, -v10, v13, v11
	v_fmac_f32_e32 v13, v14, v12
	v_fma_f32 v10, -v10, v13, v11
	v_div_fmas_f32 v10, v10, v12, v13
	v_cmp_le_i32_e32 vcc, s39, v7
	s_orn2_b64 s[64:65], vcc, exec
	v_div_fixup_f32 v9, v10, v6, v9
	ds_write_b32 v8, v9
	v_add_u32_e32 v8, s69, v8
	s_branch .LBB3_65
.LBB3_70:                               ;   in Loop: Header=BB3_55 Depth=1
                                        ; implicit-def: $sgpr22_sgpr23
                                        ; implicit-def: $sgpr24_sgpr25
                                        ; implicit-def: $sgpr8_sgpr9
	s_mov_b64 s[30:31], -1
	s_and_saveexec_b64 s[50:51], s[20:21]
	s_cbranch_execz .LBB3_54
	s_branch .LBB3_88
.LBB3_71:                               ;   in Loop: Header=BB3_55 Depth=1
	s_or_b64 exec, exec, s[30:31]
	s_orn2_b64 s[30:31], s[50:51], exec
.LBB3_72:                               ;   in Loop: Header=BB3_55 Depth=1
	s_or_b64 exec, exec, s[8:9]
	s_mov_b64 s[8:9], 0
	s_and_saveexec_b64 s[50:51], s[30:31]
	s_xor_b64 s[30:31], exec, s[50:51]
	s_cbranch_execz .LBB3_87
; %bb.73:                               ;   in Loop: Header=BB3_55 Depth=1
	v_add_u32_e32 v6, s75, v41
	v_cmp_gt_i32_e32 vcc, s39, v6
	s_mov_b64 s[8:9], -1
	s_waitcnt lgkmcnt(0)
	s_barrier
	s_and_saveexec_b64 s[50:51], vcc
	s_cbranch_execz .LBB3_84
; %bb.74:                               ;   in Loop: Header=BB3_55 Depth=1
	v_add_u32_e32 v7, s75, v42
	v_cmp_gt_i32_e32 vcc, s39, v7
	s_mov_b64 s[52:53], 0
	v_mov_b32_e32 v8, v2
                                        ; implicit-def: $sgpr54_sgpr55
                                        ; implicit-def: $sgpr58_sgpr59
                                        ; implicit-def: $sgpr56_sgpr57
	s_branch .LBB3_77
.LBB3_75:                               ;   in Loop: Header=BB3_77 Depth=2
	s_or_b64 exec, exec, s[62:63]
	v_add_u32_e32 v6, s38, v6
	v_cmp_le_i32_e64 s[8:9], s39, v6
	s_andn2_b64 s[58:59], s[58:59], exec
	s_and_b64 s[8:9], s[8:9], exec
	v_subrev_u32_e32 v8, s71, v8
	s_andn2_b64 s[56:57], s[56:57], exec
	s_or_b64 s[58:59], s[58:59], s[8:9]
.LBB3_76:                               ;   in Loop: Header=BB3_77 Depth=2
	s_or_b64 exec, exec, s[60:61]
	s_xor_b64 s[8:9], s[56:57], -1
	s_and_b64 s[60:61], exec, s[58:59]
	s_or_b64 s[52:53], s[60:61], s[52:53]
	s_andn2_b64 s[54:55], s[54:55], exec
	s_and_b64 s[8:9], s[8:9], exec
	s_or_b64 s[54:55], s[54:55], s[8:9]
	s_andn2_b64 exec, exec, s[52:53]
	s_cbranch_execz .LBB3_83
.LBB3_77:                               ;   Parent Loop BB3_55 Depth=1
                                        ; =>  This Loop Header: Depth=2
                                        ;       Child Loop BB3_81 Depth 3
	v_cmp_lt_i32_e64 s[8:9], -1, v6
	s_or_b64 s[56:57], s[56:57], exec
	s_or_b64 s[58:59], s[58:59], exec
	s_and_saveexec_b64 s[60:61], s[8:9]
	s_cbranch_execz .LBB3_76
; %bb.78:                               ;   in Loop: Header=BB3_77 Depth=2
	s_and_saveexec_b64 s[62:63], vcc
	s_cbranch_execz .LBB3_75
; %bb.79:                               ;   in Loop: Header=BB3_77 Depth=2
	s_waitcnt lgkmcnt(0)
	v_sub_u32_e32 v9, s68, v6
	v_mul_lo_u32 v10, v9, v6
	v_subrev_u32_e32 v9, s33, v6
	v_lshl_add_u32 v9, v9, 2, s74
	ds_read_b32 v9, v9
	v_lshrrev_b32_e32 v11, 31, v10
	v_add_lshl_u32 v10, v10, v11, 1
	v_and_b32_e32 v10, -4, v10
	v_add_u32_e32 v10, v8, v10
	s_mov_b64 s[64:65], 0
	v_mov_b32_e32 v11, v1
	v_mov_b32_e32 v12, v7
	s_branch .LBB3_81
.LBB3_80:                               ;   in Loop: Header=BB3_81 Depth=3
	s_or_b64 exec, exec, s[66:67]
	v_add_u32_e32 v12, s40, v12
	v_cmp_le_i32_e64 s[8:9], s39, v12
	s_or_b64 s[64:65], s[8:9], s[64:65]
	v_add_u32_e32 v11, s70, v11
	s_andn2_b64 exec, exec, s[64:65]
	s_cbranch_execz .LBB3_75
.LBB3_81:                               ;   Parent Loop BB3_55 Depth=1
                                        ;     Parent Loop BB3_77 Depth=2
                                        ; =>    This Inner Loop Header: Depth=3
	v_cmp_ge_i32_e64 s[8:9], v12, v6
	s_and_saveexec_b64 s[66:67], s[8:9]
	s_cbranch_execz .LBB3_80
; %bb.82:                               ;   in Loop: Header=BB3_81 Depth=3
	v_add_u32_e32 v13, s73, v11
	v_add_u32_e32 v14, v11, v10
	ds_read_b32 v13, v13 offset:4
	ds_read_b32 v15, v14
	s_waitcnt lgkmcnt(0)
	v_fma_f32 v13, -v9, v13, v15
	ds_write_b32 v14, v13
	s_branch .LBB3_80
.LBB3_83:                               ;   in Loop: Header=BB3_55 Depth=1
	s_or_b64 exec, exec, s[52:53]
	s_orn2_b64 s[8:9], s[54:55], exec
.LBB3_84:                               ;   in Loop: Header=BB3_55 Depth=1
	s_or_b64 exec, exec, s[50:51]
	s_mov_b64 s[50:51], s[20:21]
	s_and_saveexec_b64 s[52:53], s[8:9]
	s_cbranch_execz .LBB3_86
; %bb.85:                               ;   in Loop: Header=BB3_55 Depth=1
	s_or_b64 s[50:51], s[20:21], exec
	s_waitcnt lgkmcnt(0)
	s_barrier
.LBB3_86:                               ;   in Loop: Header=BB3_55 Depth=1
	s_or_b64 exec, exec, s[52:53]
	s_andn2_b64 s[20:21], s[20:21], exec
	s_and_b64 s[50:51], s[50:51], exec
	s_mov_b64 s[8:9], exec
	s_andn2_b64 s[24:25], s[24:25], exec
	s_andn2_b64 s[22:23], s[22:23], exec
	s_or_b64 s[20:21], s[20:21], s[50:51]
.LBB3_87:                               ;   in Loop: Header=BB3_55 Depth=1
	s_or_b64 exec, exec, s[30:31]
	s_mov_b64 s[30:31], -1
	s_and_saveexec_b64 s[50:51], s[20:21]
	s_cbranch_execz .LBB3_54
.LBB3_88:                               ;   in Loop: Header=BB3_55 Depth=1
	s_add_i32 s33, s33, 1
	s_cmp_eq_u32 s33, s39
	s_cselect_b64 s[20:21], -1, 0
	s_xor_b64 s[6:7], s[6:7], -1
	s_or_b64 s[6:7], s[6:7], s[20:21]
	s_andn2_b64 s[8:9], s[8:9], exec
	s_andn2_b64 s[24:25], s[24:25], exec
	;; [unrolled: 1-line block ×3, first 2 shown]
	s_orn2_b64 s[30:31], s[6:7], exec
	s_branch .LBB3_54
.LBB3_89:
	s_or_b64 exec, exec, s[16:17]
	s_mov_b64 s[6:7], 0
	s_mov_b64 s[50:51], -1
	s_mov_b64 s[54:55], 0
	s_mov_b64 s[52:53], 0
	s_and_saveexec_b64 s[4:5], s[18:19]
	s_cbranch_execz .LBB3_93
; %bb.90:
	s_mov_b64 s[12:13], -1
	s_mov_b64 s[8:9], 0
	s_and_saveexec_b64 s[16:17], s[14:15]
	s_xor_b64 s[14:15], exec, s[16:17]
; %bb.91:
	s_mov_b64 s[8:9], exec
	s_xor_b64 s[12:13], exec, -1
	s_and_b64 s[6:7], s[10:11], exec
; %bb.92:
	s_or_b64 exec, exec, s[14:15]
	s_xor_b64 s[50:51], exec, -1
	s_and_b64 s[52:53], s[12:13], exec
	s_and_b64 s[54:55], s[8:9], exec
	;; [unrolled: 1-line block ×3, first 2 shown]
.LBB3_93:
	s_or_b64 exec, exec, s[4:5]
	s_mov_b64 s[58:59], s[36:37]
	s_and_saveexec_b64 s[56:57], s[6:7]
	s_cbranch_execnz .LBB3_95
	s_branch .LBB3_101
.LBB3_94:
	s_mov_b64 s[6:7], -1
	s_mov_b64 s[54:55], 0
	s_mov_b64 s[52:53], 0
	;; [unrolled: 1-line block ×4, first 2 shown]
	s_and_saveexec_b64 s[56:57], s[6:7]
	s_cbranch_execz .LBB3_101
.LBB3_95:
	s_mov_b64 s[4:5], -1
	s_mov_b64 s[58:59], 0
	s_and_b64 vcc, exec, s[48:49]
	s_mov_b64 s[6:7], 0
	s_mov_b64 s[60:61], s[36:37]
	s_waitcnt vmcnt(0) lgkmcnt(0)
	s_barrier
	s_cbranch_vccnz .LBB3_119
; %bb.96:
	s_and_b64 vcc, exec, s[4:5]
	s_cbranch_vccnz .LBB3_146
.LBB3_97:
	s_and_saveexec_b64 s[4:5], s[6:7]
	s_cbranch_execnz .LBB3_159
.LBB3_98:
	s_or_b64 exec, exec, s[4:5]
	s_and_saveexec_b64 s[4:5], s[58:59]
	s_xor_b64 s[28:29], exec, s[4:5]
	s_cbranch_execz .LBB3_100
.LBB3_99:
	s_add_u32 s8, s26, 48
	s_addc_u32 s9, s27, 0
	s_getpc_b64 s[4:5]
	s_add_u32 s4, s4, .str.9@rel32@lo+4
	s_addc_u32 s5, s5, .str.9@rel32@hi+12
	s_getpc_b64 s[6:7]
	s_add_u32 s6, s6, __PRETTY_FUNCTION__._ZN9rocsolver6v33100L9idx_lowerIiEET_S2_S2_S2_@rel32@lo+4
	s_addc_u32 s7, s7, __PRETTY_FUNCTION__._ZN9rocsolver6v33100L9idx_lowerIiEET_S2_S2_S2_@rel32@hi+12
	s_getpc_b64 s[10:11]
	s_add_u32 s10, s10, __assert_fail@rel32@lo+4
	s_addc_u32 s11, s11, __assert_fail@rel32@hi+12
	v_mov_b32_e32 v0, s4
	v_mov_b32_e32 v1, s5
	;; [unrolled: 1-line block ×5, first 2 shown]
	s_swappc_b64 s[30:31], s[10:11]
	s_or_b64 s[60:61], s[60:61], exec
.LBB3_100:
	s_or_b64 exec, exec, s[28:29]
	s_andn2_b64 s[4:5], s[36:37], exec
	s_and_b64 s[6:7], s[60:61], exec
	s_or_b64 s[58:59], s[4:5], s[6:7]
	s_andn2_b64 s[54:55], s[54:55], exec
.LBB3_101:
	s_or_b64 exec, exec, s[56:57]
	s_and_saveexec_b64 s[4:5], s[54:55]
	s_xor_b64 s[28:29], exec, s[4:5]
	s_cbranch_execnz .LBB3_117
; %bb.102:
	s_or_b64 exec, exec, s[28:29]
	s_and_saveexec_b64 s[4:5], s[52:53]
	s_xor_b64 s[28:29], exec, s[4:5]
	s_cbranch_execnz .LBB3_118
.LBB3_103:
	s_or_b64 exec, exec, s[28:29]
	s_and_saveexec_b64 s[4:5], s[50:51]
	s_xor_b64 s[28:29], exec, s[4:5]
	s_cbranch_execz .LBB3_105
.LBB3_104:
	s_add_u32 s8, s26, 48
	s_addc_u32 s9, s27, 0
	s_getpc_b64 s[4:5]
	s_add_u32 s4, s4, .str.8@rel32@lo+4
	s_addc_u32 s5, s5, .str.8@rel32@hi+12
	s_getpc_b64 s[6:7]
	s_add_u32 s6, s6, __PRETTY_FUNCTION__._ZN9rocsolver6v33100L9idx_lowerIiEET_S2_S2_S2_@rel32@lo+4
	s_addc_u32 s7, s7, __PRETTY_FUNCTION__._ZN9rocsolver6v33100L9idx_lowerIiEET_S2_S2_S2_@rel32@hi+12
	s_getpc_b64 s[10:11]
	s_add_u32 s10, s10, __assert_fail@rel32@lo+4
	s_addc_u32 s11, s11, __assert_fail@rel32@hi+12
	v_mov_b32_e32 v0, s4
	v_mov_b32_e32 v1, s5
	;; [unrolled: 1-line block ×5, first 2 shown]
	s_swappc_b64 s[30:31], s[10:11]
	s_or_b64 s[58:59], s[58:59], exec
.LBB3_105:
	s_or_b64 exec, exec, s[28:29]
	s_andn2_b64 s[4:5], s[36:37], exec
	s_and_b64 s[6:7], s[58:59], exec
	s_or_b64 s[36:37], s[4:5], s[6:7]
	s_andn2_b64 s[44:45], s[44:45], exec
.LBB3_106:
	s_or_b64 exec, exec, s[46:47]
	s_and_saveexec_b64 s[4:5], s[44:45]
	s_xor_b64 s[28:29], exec, s[4:5]
	s_cbranch_execz .LBB3_108
; %bb.107:
	s_add_u32 s8, s26, 48
	s_addc_u32 s9, s27, 0
	s_getpc_b64 s[4:5]
	s_add_u32 s4, s4, .str.9@rel32@lo+4
	s_addc_u32 s5, s5, .str.9@rel32@hi+12
	s_getpc_b64 s[6:7]
	s_add_u32 s6, s6, __PRETTY_FUNCTION__._ZN9rocsolver6v33100L9idx_lowerIiEET_S2_S2_S2_@rel32@lo+4
	s_addc_u32 s7, s7, __PRETTY_FUNCTION__._ZN9rocsolver6v33100L9idx_lowerIiEET_S2_S2_S2_@rel32@hi+12
	s_getpc_b64 s[10:11]
	s_add_u32 s10, s10, __assert_fail@rel32@lo+4
	s_addc_u32 s11, s11, __assert_fail@rel32@hi+12
	v_mov_b32_e32 v0, s4
	v_mov_b32_e32 v1, s5
	;; [unrolled: 1-line block ×5, first 2 shown]
	s_swappc_b64 s[30:31], s[10:11]
	s_or_b64 s[36:37], s[36:37], exec
.LBB3_108:
	s_or_b64 exec, exec, s[28:29]
	s_branch .LBB3_110
.LBB3_109:
	s_add_u32 s8, s26, 48
	s_addc_u32 s9, s27, 0
	s_getpc_b64 s[4:5]
	s_add_u32 s4, s4, .str.4@rel32@lo+4
	s_addc_u32 s5, s5, .str.4@rel32@hi+12
	s_getpc_b64 s[6:7]
	s_add_u32 s6, s6, __PRETTY_FUNCTION__._ZN9rocsolver6v33100L18potf2_kernel_smallIfiiPKPfEEvbT0_T2_lS5_lPT1_@rel32@lo+4
	s_addc_u32 s7, s7, __PRETTY_FUNCTION__._ZN9rocsolver6v33100L18potf2_kernel_smallIfiiPKPfEEvbT0_T2_lS5_lPT1_@rel32@hi+12
	s_getpc_b64 s[10:11]
	s_add_u32 s10, s10, __assert_fail@rel32@lo+4
	s_addc_u32 s11, s11, __assert_fail@rel32@hi+12
	v_mov_b32_e32 v0, s4
	v_mov_b32_e32 v1, s5
	;; [unrolled: 1-line block ×5, first 2 shown]
	s_swappc_b64 s[30:31], s[10:11]
	s_or_b64 s[36:37], s[36:37], exec
.LBB3_110:
	s_branch .LBB3_112
.LBB3_111:
	s_add_u32 s8, s26, 48
	s_addc_u32 s9, s27, 0
	s_getpc_b64 s[4:5]
	s_add_u32 s4, s4, .str.3@rel32@lo+4
	s_addc_u32 s5, s5, .str.3@rel32@hi+12
	s_getpc_b64 s[6:7]
	s_add_u32 s6, s6, __PRETTY_FUNCTION__._ZN9rocsolver6v33100L18potf2_kernel_smallIfiiPKPfEEvbT0_T2_lS5_lPT1_@rel32@lo+4
	s_addc_u32 s7, s7, __PRETTY_FUNCTION__._ZN9rocsolver6v33100L18potf2_kernel_smallIfiiPKPfEEvbT0_T2_lS5_lPT1_@rel32@hi+12
	s_getpc_b64 s[10:11]
	s_add_u32 s10, s10, __assert_fail@rel32@lo+4
	s_addc_u32 s11, s11, __assert_fail@rel32@hi+12
	v_mov_b32_e32 v0, s4
	v_mov_b32_e32 v1, s5
	;; [unrolled: 1-line block ×5, first 2 shown]
	s_swappc_b64 s[30:31], s[10:11]
	s_or_b64 s[36:37], s[36:37], exec
.LBB3_112:
	s_branch .LBB3_114
.LBB3_113:
	s_add_u32 s8, s26, 48
	s_addc_u32 s9, s27, 0
	s_getpc_b64 s[4:5]
	s_add_u32 s4, s4, .str.2@rel32@lo+4
	s_addc_u32 s5, s5, .str.2@rel32@hi+12
	s_getpc_b64 s[6:7]
	s_add_u32 s6, s6, __PRETTY_FUNCTION__._ZN9rocsolver6v33100L18potf2_kernel_smallIfiiPKPfEEvbT0_T2_lS5_lPT1_@rel32@lo+4
	s_addc_u32 s7, s7, __PRETTY_FUNCTION__._ZN9rocsolver6v33100L18potf2_kernel_smallIfiiPKPfEEvbT0_T2_lS5_lPT1_@rel32@hi+12
	s_getpc_b64 s[10:11]
	s_add_u32 s10, s10, __assert_fail@rel32@lo+4
	s_addc_u32 s11, s11, __assert_fail@rel32@hi+12
	v_mov_b32_e32 v0, s4
	v_mov_b32_e32 v1, s5
	;; [unrolled: 1-line block ×5, first 2 shown]
	s_swappc_b64 s[30:31], s[10:11]
	s_or_b64 s[36:37], s[36:37], exec
.LBB3_114:
	s_and_saveexec_b64 s[4:5], s[36:37]
; %bb.115:
	; divergent unreachable
; %bb.116:
	s_endpgm
.LBB3_117:
	s_add_u32 s8, s26, 48
	s_addc_u32 s9, s27, 0
	s_getpc_b64 s[4:5]
	s_add_u32 s4, s4, .str.8@rel32@lo+4
	s_addc_u32 s5, s5, .str.8@rel32@hi+12
	s_getpc_b64 s[6:7]
	s_add_u32 s6, s6, __PRETTY_FUNCTION__._ZN9rocsolver6v33100L9idx_lowerIiEET_S2_S2_S2_@rel32@lo+4
	s_addc_u32 s7, s7, __PRETTY_FUNCTION__._ZN9rocsolver6v33100L9idx_lowerIiEET_S2_S2_S2_@rel32@hi+12
	s_getpc_b64 s[10:11]
	s_add_u32 s10, s10, __assert_fail@rel32@lo+4
	s_addc_u32 s11, s11, __assert_fail@rel32@hi+12
	v_mov_b32_e32 v0, s4
	v_mov_b32_e32 v1, s5
	;; [unrolled: 1-line block ×5, first 2 shown]
	s_swappc_b64 s[30:31], s[10:11]
	s_or_b64 s[58:59], s[58:59], exec
	s_or_b64 exec, exec, s[28:29]
	s_and_saveexec_b64 s[4:5], s[52:53]
	s_xor_b64 s[28:29], exec, s[4:5]
	s_cbranch_execz .LBB3_103
.LBB3_118:
	s_add_u32 s8, s26, 48
	s_addc_u32 s9, s27, 0
	s_getpc_b64 s[4:5]
	s_add_u32 s4, s4, .str.10@rel32@lo+4
	s_addc_u32 s5, s5, .str.10@rel32@hi+12
	s_getpc_b64 s[6:7]
	s_add_u32 s6, s6, __PRETTY_FUNCTION__._ZN9rocsolver6v33100L9idx_lowerIiEET_S2_S2_S2_@rel32@lo+4
	s_addc_u32 s7, s7, __PRETTY_FUNCTION__._ZN9rocsolver6v33100L9idx_lowerIiEET_S2_S2_S2_@rel32@hi+12
	s_getpc_b64 s[10:11]
	s_add_u32 s10, s10, __assert_fail@rel32@lo+4
	s_addc_u32 s11, s11, __assert_fail@rel32@hi+12
	v_mov_b32_e32 v0, s4
	v_mov_b32_e32 v1, s5
	;; [unrolled: 1-line block ×5, first 2 shown]
	s_swappc_b64 s[30:31], s[10:11]
	s_or_b64 s[58:59], s[58:59], exec
	s_or_b64 exec, exec, s[28:29]
	s_and_saveexec_b64 s[4:5], s[50:51]
	s_xor_b64 s[28:29], exec, s[4:5]
	s_cbranch_execnz .LBB3_104
	s_branch .LBB3_105
.LBB3_119:
	s_mov_b64 s[6:7], -1
	s_mov_b64 s[60:61], s[36:37]
	s_and_saveexec_b64 s[48:49], s[34:35]
	s_cbranch_execz .LBB3_145
; %bb.120:
	s_lshl_b32 s4, s39, 1
	s_or_b32 s33, s4, 1
	v_add_u32_e32 v2, v41, v42
	v_lshl_add_u32 v3, v42, 2, 0
	s_lshl_b32 s43, s40, 2
	s_mov_b64 s[14:15], 0
	v_mov_b32_e32 v4, v41
                                        ; implicit-def: $sgpr12_sgpr13
                                        ; implicit-def: $sgpr10_sgpr11
                                        ; implicit-def: $sgpr8_sgpr9
                                        ; implicit-def: $sgpr16_sgpr17
	s_branch .LBB3_122
.LBB3_121:                              ;   in Loop: Header=BB3_122 Depth=1
	s_or_b64 exec, exec, s[22:23]
	s_xor_b64 s[6:7], s[20:21], -1
	s_xor_b64 s[18:19], s[18:19], -1
	s_and_b64 s[4:5], exec, s[4:5]
	s_or_b64 s[14:15], s[4:5], s[14:15]
	s_andn2_b64 s[4:5], s[8:9], exec
	s_and_b64 s[8:9], s[16:17], exec
	s_or_b64 s[8:9], s[4:5], s[8:9]
	s_andn2_b64 s[4:5], s[10:11], exec
	s_and_b64 s[6:7], s[6:7], exec
	;; [unrolled: 3-line block ×3, first 2 shown]
	s_or_b64 s[12:13], s[4:5], s[6:7]
	s_andn2_b64 exec, exec, s[14:15]
	s_cbranch_execz .LBB3_134
.LBB3_122:                              ; =>This Loop Header: Depth=1
                                        ;     Child Loop BB3_127 Depth 2
	v_add_u32_e32 v0, v4, v42
	v_cmp_gt_i32_e32 vcc, s39, v0
	s_mov_b64 s[6:7], -1
                                        ; implicit-def: $sgpr18_sgpr19
                                        ; implicit-def: $sgpr20_sgpr21
                                        ; implicit-def: $sgpr24_sgpr25
	s_and_saveexec_b64 s[22:23], vcc
	s_cbranch_execz .LBB3_132
; %bb.123:                              ;   in Loop: Header=BB3_122 Depth=1
	v_sub_u32_e32 v1, s33, v4
	v_mad_i64_i32 v[5:6], s[4:5], v4, s42, 0
	v_mul_lo_u32 v1, v1, v4
	v_cmp_lt_i32_e32 vcc, -1, v4
	v_lshlrev_b64 v[5:6], 2, v[5:6]
	s_mov_b64 s[30:31], 0
	v_lshrrev_b32_e32 v7, 31, v1
	v_add_co_u32_e64 v5, s[4:5], v44, v5
	v_add_lshl_u32 v1, v1, v7, 1
	v_addc_co_u32_e64 v6, s[4:5], v46, v6, s[4:5]
	v_and_b32_e32 v1, -4, v1
	v_cmp_ge_u32_e64 s[4:5], v2, v4
	v_add_u32_e32 v7, v3, v1
                                        ; implicit-def: $sgpr60_sgpr61
                                        ; implicit-def: $sgpr24_sgpr25
                                        ; implicit-def: $sgpr20_sgpr21
                                        ; implicit-def: $sgpr18_sgpr19
                                        ; implicit-def: $sgpr62_sgpr63
                                        ; implicit-def: $sgpr66_sgpr67
                                        ; implicit-def: $sgpr68_sgpr69
                                        ; implicit-def: $sgpr64_sgpr65
                                        ; implicit-def: $sgpr70_sgpr71
	s_branch .LBB3_127
.LBB3_124:                              ;   in Loop: Header=BB3_127 Depth=2
	s_or_b64 exec, exec, s[76:77]
	s_mov_b64 s[6:7], exec
	s_orn2_b64 s[80:81], s[78:79], exec
	s_xor_b64 s[78:79], exec, -1
	s_orn2_b64 s[76:77], s[82:83], exec
.LBB3_125:                              ;   in Loop: Header=BB3_127 Depth=2
	s_or_b64 exec, exec, s[74:75]
	s_andn2_b64 s[70:71], s[70:71], exec
	s_and_b64 s[74:75], s[80:81], exec
	s_andn2_b64 s[66:67], s[66:67], exec
	s_and_b64 s[6:7], s[6:7], exec
	s_or_b64 s[70:71], s[70:71], s[74:75]
	s_andn2_b64 s[68:69], s[68:69], exec
	s_and_b64 s[74:75], s[78:79], exec
	s_or_b64 s[66:67], s[66:67], s[6:7]
	s_andn2_b64 s[6:7], s[62:63], exec
	s_and_b64 s[62:63], s[76:77], exec
	s_andn2_b64 s[64:65], s[64:65], exec
	s_or_b64 s[68:69], s[68:69], s[74:75]
	s_or_b64 s[62:63], s[6:7], s[62:63]
.LBB3_126:                              ;   in Loop: Header=BB3_127 Depth=2
	s_or_b64 exec, exec, s[72:73]
	s_xor_b64 s[6:7], s[70:71], -1
	s_and_b64 s[72:73], exec, s[62:63]
	s_or_b64 s[30:31], s[72:73], s[30:31]
	s_andn2_b64 s[18:19], s[18:19], exec
	s_and_b64 s[72:73], s[64:65], exec
	s_or_b64 s[18:19], s[18:19], s[72:73]
	s_andn2_b64 s[20:21], s[20:21], exec
	s_and_b64 s[72:73], s[68:69], exec
	s_or_b64 s[20:21], s[20:21], s[72:73]
	s_andn2_b64 s[24:25], s[24:25], exec
	s_and_b64 s[72:73], s[66:67], exec
	s_andn2_b64 s[60:61], s[60:61], exec
	s_and_b64 s[6:7], s[6:7], exec
	s_or_b64 s[24:25], s[24:25], s[72:73]
	s_or_b64 s[60:61], s[60:61], s[6:7]
	s_andn2_b64 exec, exec, s[30:31]
	s_cbranch_execz .LBB3_131
.LBB3_127:                              ;   Parent Loop BB3_122 Depth=1
                                        ; =>  This Inner Loop Header: Depth=2
	v_cmp_lt_i32_e64 s[6:7], -1, v0
	s_or_b64 s[70:71], s[70:71], exec
	s_or_b64 s[64:65], s[64:65], exec
	s_andn2_b64 s[68:69], s[68:69], exec
	s_andn2_b64 s[66:67], s[66:67], exec
	s_or_b64 s[62:63], s[62:63], exec
	s_and_saveexec_b64 s[72:73], s[6:7]
	s_cbranch_execz .LBB3_126
; %bb.128:                              ;   in Loop: Header=BB3_127 Depth=2
	s_mov_b64 s[6:7], 0
	s_mov_b64 s[76:77], -1
	s_mov_b64 s[78:79], -1
	;; [unrolled: 1-line block ×3, first 2 shown]
	s_and_saveexec_b64 s[74:75], vcc
	s_cbranch_execz .LBB3_125
; %bb.129:                              ;   in Loop: Header=BB3_127 Depth=2
	s_mov_b64 s[82:83], -1
	s_and_saveexec_b64 s[76:77], s[4:5]
	s_cbranch_execz .LBB3_124
; %bb.130:                              ;   in Loop: Header=BB3_127 Depth=2
	v_ashrrev_i32_e32 v1, 31, v0
	v_lshlrev_b64 v[8:9], 2, v[0:1]
	ds_read_b32 v10, v7
	v_add_co_u32_e64 v8, s[6:7], v5, v8
	v_addc_co_u32_e64 v9, s[6:7], v6, v9, s[6:7]
	v_add_u32_e32 v0, s40, v0
	v_cmp_le_i32_e64 s[6:7], s39, v0
	v_add_u32_e32 v7, s43, v7
	s_xor_b64 s[78:79], exec, -1
	s_orn2_b64 s[82:83], s[6:7], exec
	s_waitcnt lgkmcnt(0)
	flat_store_dword v[8:9], v10
	s_branch .LBB3_124
.LBB3_131:                              ;   in Loop: Header=BB3_122 Depth=1
	s_or_b64 exec, exec, s[30:31]
	s_orn2_b64 s[6:7], s[60:61], exec
.LBB3_132:                              ;   in Loop: Header=BB3_122 Depth=1
	s_or_b64 exec, exec, s[22:23]
	s_andn2_b64 s[16:17], s[16:17], exec
	s_and_b64 s[22:23], s[24:25], exec
	s_mov_b64 s[4:5], -1
	s_or_b64 s[16:17], s[16:17], s[22:23]
	s_and_saveexec_b64 s[22:23], s[6:7]
	s_cbranch_execz .LBB3_121
; %bb.133:                              ;   in Loop: Header=BB3_122 Depth=1
	v_add_u32_e32 v4, s38, v4
	v_cmp_le_i32_e32 vcc, s39, v4
	v_add_u32_e32 v2, s38, v2
	s_andn2_b64 s[16:17], s[16:17], exec
	s_andn2_b64 s[20:21], s[20:21], exec
	;; [unrolled: 1-line block ×3, first 2 shown]
	s_orn2_b64 s[4:5], vcc, exec
	s_branch .LBB3_121
.LBB3_134:
	s_or_b64 exec, exec, s[14:15]
	s_mov_b64 s[62:63], 0
	s_mov_b64 s[66:67], s[36:37]
	s_and_saveexec_b64 s[4:5], s[12:13]
	s_xor_b64 s[60:61], exec, s[4:5]
	s_cbranch_execz .LBB3_142
; %bb.135:
	s_mov_b64 s[64:65], 0
	s_mov_b64 s[66:67], s[36:37]
	s_and_saveexec_b64 s[4:5], s[10:11]
	s_xor_b64 s[62:63], exec, s[4:5]
	s_cbranch_execz .LBB3_139
; %bb.136:
	s_mov_b64 s[4:5], -1
	s_mov_b64 s[6:7], s[36:37]
	s_and_saveexec_b64 s[10:11], s[8:9]
	s_xor_b64 s[64:65], exec, s[10:11]
	s_cbranch_execz .LBB3_138
; %bb.137:
	s_add_u32 s8, s26, 48
	s_addc_u32 s9, s27, 0
	s_getpc_b64 s[4:5]
	s_add_u32 s4, s4, .str.10@rel32@lo+4
	s_addc_u32 s5, s5, .str.10@rel32@hi+12
	s_getpc_b64 s[6:7]
	s_add_u32 s6, s6, __PRETTY_FUNCTION__._ZN9rocsolver6v33100L9idx_lowerIiEET_S2_S2_S2_@rel32@lo+4
	s_addc_u32 s7, s7, __PRETTY_FUNCTION__._ZN9rocsolver6v33100L9idx_lowerIiEET_S2_S2_S2_@rel32@hi+12
	s_getpc_b64 s[10:11]
	s_add_u32 s10, s10, __assert_fail@rel32@lo+4
	s_addc_u32 s11, s11, __assert_fail@rel32@hi+12
	v_mov_b32_e32 v0, s4
	v_mov_b32_e32 v1, s5
	;; [unrolled: 1-line block ×5, first 2 shown]
	s_swappc_b64 s[30:31], s[10:11]
	s_or_b64 s[6:7], s[36:37], exec
	s_xor_b64 s[4:5], exec, -1
.LBB3_138:
	s_or_b64 exec, exec, s[64:65]
	s_andn2_b64 s[8:9], s[36:37], exec
	s_and_b64 s[6:7], s[6:7], exec
	s_or_b64 s[66:67], s[8:9], s[6:7]
	s_and_b64 s[64:65], s[4:5], exec
.LBB3_139:
	s_andn2_saveexec_b64 s[62:63], s[62:63]
	s_cbranch_execz .LBB3_141
; %bb.140:
	s_add_u32 s8, s26, 48
	s_addc_u32 s9, s27, 0
	s_getpc_b64 s[4:5]
	s_add_u32 s4, s4, .str.9@rel32@lo+4
	s_addc_u32 s5, s5, .str.9@rel32@hi+12
	s_getpc_b64 s[6:7]
	s_add_u32 s6, s6, __PRETTY_FUNCTION__._ZN9rocsolver6v33100L9idx_lowerIiEET_S2_S2_S2_@rel32@lo+4
	s_addc_u32 s7, s7, __PRETTY_FUNCTION__._ZN9rocsolver6v33100L9idx_lowerIiEET_S2_S2_S2_@rel32@hi+12
	s_getpc_b64 s[10:11]
	s_add_u32 s10, s10, __assert_fail@rel32@lo+4
	s_addc_u32 s11, s11, __assert_fail@rel32@hi+12
	v_mov_b32_e32 v0, s4
	v_mov_b32_e32 v1, s5
	;; [unrolled: 1-line block ×5, first 2 shown]
	s_swappc_b64 s[30:31], s[10:11]
	s_or_b64 s[66:67], s[66:67], exec
.LBB3_141:
	s_or_b64 exec, exec, s[62:63]
	s_andn2_b64 s[4:5], s[36:37], exec
	s_and_b64 s[6:7], s[66:67], exec
	s_or_b64 s[66:67], s[4:5], s[6:7]
	s_and_b64 s[62:63], s[64:65], exec
.LBB3_142:
	s_andn2_saveexec_b64 s[60:61], s[60:61]
	s_cbranch_execz .LBB3_144
; %bb.143:
	s_add_u32 s8, s26, 48
	s_addc_u32 s9, s27, 0
	s_getpc_b64 s[4:5]
	s_add_u32 s4, s4, .str.8@rel32@lo+4
	s_addc_u32 s5, s5, .str.8@rel32@hi+12
	s_getpc_b64 s[6:7]
	s_add_u32 s6, s6, __PRETTY_FUNCTION__._ZN9rocsolver6v33100L9idx_lowerIiEET_S2_S2_S2_@rel32@lo+4
	s_addc_u32 s7, s7, __PRETTY_FUNCTION__._ZN9rocsolver6v33100L9idx_lowerIiEET_S2_S2_S2_@rel32@hi+12
	s_getpc_b64 s[10:11]
	s_add_u32 s10, s10, __assert_fail@rel32@lo+4
	s_addc_u32 s11, s11, __assert_fail@rel32@hi+12
	v_mov_b32_e32 v0, s4
	v_mov_b32_e32 v1, s5
	;; [unrolled: 1-line block ×5, first 2 shown]
	s_swappc_b64 s[30:31], s[10:11]
	s_or_b64 s[66:67], s[66:67], exec
.LBB3_144:
	s_or_b64 exec, exec, s[60:61]
	s_andn2_b64 s[4:5], s[36:37], exec
	s_and_b64 s[6:7], s[66:67], exec
	s_or_b64 s[60:61], s[4:5], s[6:7]
	s_orn2_b64 s[6:7], s[62:63], exec
.LBB3_145:
	s_or_b64 exec, exec, s[48:49]
	s_branch .LBB3_97
.LBB3_146:
	s_mov_b64 s[6:7], -1
	s_mov_b64 s[58:59], 0
	s_and_saveexec_b64 s[4:5], s[34:35]
	s_cbranch_execz .LBB3_158
; %bb.147:
	v_lshlrev_b32_e32 v0, 2, v41
	v_lshlrev_b32_e32 v1, 2, v42
	s_lshl_b32 s6, s39, 1
	v_sub_u32_e32 v0, v0, v1
	v_add_u32_e32 v4, 0, v0
	v_sub_u32_e32 v0, s6, v42
	v_add_u32_e32 v5, 1, v0
	v_mov_b32_e32 v0, s41
	v_addc_co_u32_e64 v2, vcc, v45, v0, s[28:29]
	s_ashr_i32 s43, s42, 31
	s_lshl_b32 s25, s40, 2
	v_add_co_u32_e32 v0, vcc, v44, v1
	s_lshl_b32 s24, s38, 2
	s_sub_i32 s30, 0, s25
	v_addc_co_u32_e32 v1, vcc, 0, v2, vcc
	s_lshl_b64 s[6:7], s[42:43], 2
	s_mov_b64 s[8:9], 0
                                        ; implicit-def: $sgpr10_sgpr11
	s_branch .LBB3_149
.LBB3_148:                              ;   in Loop: Header=BB3_149 Depth=1
	s_or_b64 exec, exec, s[18:19]
	s_xor_b64 s[14:15], s[14:15], -1
	s_and_b64 s[12:13], exec, s[12:13]
	s_or_b64 s[8:9], s[12:13], s[8:9]
	s_andn2_b64 s[10:11], s[10:11], exec
	s_and_b64 s[12:13], s[14:15], exec
	s_or_b64 s[10:11], s[10:11], s[12:13]
	s_andn2_b64 exec, exec, s[8:9]
	s_cbranch_execz .LBB3_157
.LBB3_149:                              ; =>This Loop Header: Depth=1
                                        ;     Child Loop BB3_152 Depth 2
	v_cmp_le_i32_e32 vcc, v42, v41
	s_mov_b64 s[16:17], -1
	s_and_saveexec_b64 s[12:13], vcc
	s_cbranch_execz .LBB3_155
; %bb.150:                              ;   in Loop: Header=BB3_149 Depth=1
	v_mad_u64_u32 v[2:3], s[14:15], s6, v41, v[0:1]
	v_mov_b32_e32 v6, v5
	v_mov_b32_e32 v7, v4
	v_mad_u64_u32 v[8:9], s[14:15], s7, v41, v[3:4]
	s_mov_b64 s[14:15], 0
                                        ; implicit-def: $sgpr16_sgpr17
                                        ; implicit-def: $sgpr20_sgpr21
                                        ; implicit-def: $sgpr18_sgpr19
	v_mov_b32_e32 v3, v8
	v_mov_b32_e32 v8, v42
	s_branch .LBB3_152
.LBB3_151:                              ;   in Loop: Header=BB3_152 Depth=2
	s_or_b64 exec, exec, s[22:23]
	s_xor_b64 s[22:23], s[18:19], -1
	s_and_b64 s[28:29], exec, s[20:21]
	s_or_b64 s[14:15], s[28:29], s[14:15]
	s_andn2_b64 s[16:17], s[16:17], exec
	s_and_b64 s[22:23], s[22:23], exec
	s_or_b64 s[16:17], s[16:17], s[22:23]
	s_andn2_b64 exec, exec, s[14:15]
	s_cbranch_execz .LBB3_154
.LBB3_152:                              ;   Parent Loop BB3_149 Depth=1
                                        ; =>  This Inner Loop Header: Depth=2
	v_cmp_lt_i32_e32 vcc, -1, v8
	s_or_b64 s[18:19], s[18:19], exec
	s_or_b64 s[20:21], s[20:21], exec
	s_and_saveexec_b64 s[22:23], vcc
	s_cbranch_execz .LBB3_151
; %bb.153:                              ;   in Loop: Header=BB3_152 Depth=2
	v_mul_lo_u32 v9, v6, v8
	v_add_u32_e32 v8, s40, v8
	s_andn2_b64 s[20:21], s[20:21], exec
	v_subrev_u32_e32 v6, s40, v6
	v_lshrrev_b32_e32 v10, 31, v9
	v_add_lshl_u32 v9, v9, v10, 1
	v_and_b32_e32 v9, -4, v9
	v_add_u32_e32 v9, v7, v9
	ds_read_b32 v9, v9
	v_add_u32_e32 v7, s30, v7
	s_andn2_b64 s[18:19], s[18:19], exec
	s_waitcnt lgkmcnt(0)
	flat_store_dword v[2:3], v9
	v_add_co_u32_e32 v2, vcc, s25, v2
	v_addc_co_u32_e32 v3, vcc, 0, v3, vcc
	v_cmp_gt_i32_e32 vcc, v8, v41
	s_and_b64 s[28:29], vcc, exec
	s_or_b64 s[20:21], s[20:21], s[28:29]
	s_branch .LBB3_151
.LBB3_154:                              ;   in Loop: Header=BB3_149 Depth=1
	s_or_b64 exec, exec, s[14:15]
	s_orn2_b64 s[16:17], s[16:17], exec
.LBB3_155:                              ;   in Loop: Header=BB3_149 Depth=1
	s_or_b64 exec, exec, s[12:13]
	s_mov_b64 s[12:13], -1
	s_mov_b64 s[14:15], -1
	s_and_saveexec_b64 s[18:19], s[16:17]
	s_cbranch_execz .LBB3_148
; %bb.156:                              ;   in Loop: Header=BB3_149 Depth=1
	v_add_u32_e32 v41, s38, v41
	v_cmp_le_i32_e32 vcc, s39, v41
	v_add_u32_e32 v4, s24, v4
	s_xor_b64 s[14:15], exec, -1
	s_orn2_b64 s[12:13], vcc, exec
	s_branch .LBB3_148
.LBB3_157:
	s_or_b64 exec, exec, s[8:9]
	s_mov_b64 s[58:59], exec
	s_orn2_b64 s[6:7], s[10:11], exec
.LBB3_158:
	s_or_b64 exec, exec, s[4:5]
	s_and_saveexec_b64 s[4:5], s[6:7]
	s_cbranch_execz .LBB3_98
.LBB3_159:
	s_waitcnt vmcnt(0) lgkmcnt(0)
	s_barrier
	s_andn2_b64 s[58:59], s[58:59], exec
	s_or_b64 exec, exec, s[4:5]
	s_and_saveexec_b64 s[4:5], s[58:59]
	s_xor_b64 s[28:29], exec, s[4:5]
	s_cbranch_execnz .LBB3_99
	s_branch .LBB3_100
	.section	.rodata,"a",@progbits
	.p2align	6, 0x0
	.amdhsa_kernel _ZN9rocsolver6v33100L18potf2_kernel_smallIfiiPKPfEEvbT0_T2_lS5_lPT1_
		.amdhsa_group_segment_fixed_size 0
		.amdhsa_private_segment_fixed_size 64
		.amdhsa_kernarg_size 304
		.amdhsa_user_sgpr_count 8
		.amdhsa_user_sgpr_private_segment_buffer 1
		.amdhsa_user_sgpr_dispatch_ptr 0
		.amdhsa_user_sgpr_queue_ptr 0
		.amdhsa_user_sgpr_kernarg_segment_ptr 1
		.amdhsa_user_sgpr_dispatch_id 0
		.amdhsa_user_sgpr_flat_scratch_init 1
		.amdhsa_user_sgpr_private_segment_size 0
		.amdhsa_uses_dynamic_stack 0
		.amdhsa_system_sgpr_private_segment_wavefront_offset 1
		.amdhsa_system_sgpr_workgroup_id_x 1
		.amdhsa_system_sgpr_workgroup_id_y 0
		.amdhsa_system_sgpr_workgroup_id_z 1
		.amdhsa_system_sgpr_workgroup_info 0
		.amdhsa_system_vgpr_workitem_id 2
		.amdhsa_next_free_vgpr 51
		.amdhsa_next_free_sgpr 84
		.amdhsa_reserve_vcc 1
		.amdhsa_reserve_flat_scratch 1
		.amdhsa_float_round_mode_32 0
		.amdhsa_float_round_mode_16_64 0
		.amdhsa_float_denorm_mode_32 3
		.amdhsa_float_denorm_mode_16_64 3
		.amdhsa_dx10_clamp 1
		.amdhsa_ieee_mode 1
		.amdhsa_fp16_overflow 0
		.amdhsa_exception_fp_ieee_invalid_op 0
		.amdhsa_exception_fp_denorm_src 0
		.amdhsa_exception_fp_ieee_div_zero 0
		.amdhsa_exception_fp_ieee_overflow 0
		.amdhsa_exception_fp_ieee_underflow 0
		.amdhsa_exception_fp_ieee_inexact 0
		.amdhsa_exception_int_div_zero 0
	.end_amdhsa_kernel
	.section	.text._ZN9rocsolver6v33100L18potf2_kernel_smallIfiiPKPfEEvbT0_T2_lS5_lPT1_,"axG",@progbits,_ZN9rocsolver6v33100L18potf2_kernel_smallIfiiPKPfEEvbT0_T2_lS5_lPT1_,comdat
.Lfunc_end3:
	.size	_ZN9rocsolver6v33100L18potf2_kernel_smallIfiiPKPfEEvbT0_T2_lS5_lPT1_, .Lfunc_end3-_ZN9rocsolver6v33100L18potf2_kernel_smallIfiiPKPfEEvbT0_T2_lS5_lPT1_
                                        ; -- End function
	.set _ZN9rocsolver6v33100L18potf2_kernel_smallIfiiPKPfEEvbT0_T2_lS5_lPT1_.num_vgpr, max(47, .L__assert_fail.num_vgpr)
	.set _ZN9rocsolver6v33100L18potf2_kernel_smallIfiiPKPfEEvbT0_T2_lS5_lPT1_.num_agpr, max(0, .L__assert_fail.num_agpr)
	.set _ZN9rocsolver6v33100L18potf2_kernel_smallIfiiPKPfEEvbT0_T2_lS5_lPT1_.numbered_sgpr, max(84, .L__assert_fail.numbered_sgpr)
	.set _ZN9rocsolver6v33100L18potf2_kernel_smallIfiiPKPfEEvbT0_T2_lS5_lPT1_.num_named_barrier, max(0, .L__assert_fail.num_named_barrier)
	.set _ZN9rocsolver6v33100L18potf2_kernel_smallIfiiPKPfEEvbT0_T2_lS5_lPT1_.private_seg_size, 0+max(.L__assert_fail.private_seg_size)
	.set _ZN9rocsolver6v33100L18potf2_kernel_smallIfiiPKPfEEvbT0_T2_lS5_lPT1_.uses_vcc, or(1, .L__assert_fail.uses_vcc)
	.set _ZN9rocsolver6v33100L18potf2_kernel_smallIfiiPKPfEEvbT0_T2_lS5_lPT1_.uses_flat_scratch, or(1, .L__assert_fail.uses_flat_scratch)
	.set _ZN9rocsolver6v33100L18potf2_kernel_smallIfiiPKPfEEvbT0_T2_lS5_lPT1_.has_dyn_sized_stack, or(0, .L__assert_fail.has_dyn_sized_stack)
	.set _ZN9rocsolver6v33100L18potf2_kernel_smallIfiiPKPfEEvbT0_T2_lS5_lPT1_.has_recursion, or(0, .L__assert_fail.has_recursion)
	.set _ZN9rocsolver6v33100L18potf2_kernel_smallIfiiPKPfEEvbT0_T2_lS5_lPT1_.has_indirect_call, or(0, .L__assert_fail.has_indirect_call)
	.section	.AMDGPU.csdata,"",@progbits
; Kernel info:
; codeLenInByte = 5728
; TotalNumSgprs: 90
; NumVgprs: 51
; ScratchSize: 64
; MemoryBound: 0
; FloatMode: 240
; IeeeMode: 1
; LDSByteSize: 0 bytes/workgroup (compile time only)
; SGPRBlocks: 11
; VGPRBlocks: 12
; NumSGPRsForWavesPerEU: 90
; NumVGPRsForWavesPerEU: 51
; Occupancy: 4
; WaveLimiterHint : 1
; COMPUTE_PGM_RSRC2:SCRATCH_EN: 1
; COMPUTE_PGM_RSRC2:USER_SGPR: 8
; COMPUTE_PGM_RSRC2:TRAP_HANDLER: 0
; COMPUTE_PGM_RSRC2:TGID_X_EN: 1
; COMPUTE_PGM_RSRC2:TGID_Y_EN: 0
; COMPUTE_PGM_RSRC2:TGID_Z_EN: 1
; COMPUTE_PGM_RSRC2:TIDIG_COMP_CNT: 2
	.section	.text._ZN9rocsolver6v33100L18potf2_kernel_smallIfllPfEEvbT0_T2_lS3_lPT1_,"axG",@progbits,_ZN9rocsolver6v33100L18potf2_kernel_smallIfllPfEEvbT0_T2_lS3_lPT1_,comdat
	.globl	_ZN9rocsolver6v33100L18potf2_kernel_smallIfllPfEEvbT0_T2_lS3_lPT1_ ; -- Begin function _ZN9rocsolver6v33100L18potf2_kernel_smallIfllPfEEvbT0_T2_lS3_lPT1_
	.p2align	8
	.type	_ZN9rocsolver6v33100L18potf2_kernel_smallIfllPfEEvbT0_T2_lS3_lPT1_,@function
_ZN9rocsolver6v33100L18potf2_kernel_smallIfllPfEEvbT0_T2_lS3_lPT1_: ; @_ZN9rocsolver6v33100L18potf2_kernel_smallIfllPfEEvbT0_T2_lS3_lPT1_
; %bb.0:
	s_load_dwordx2 s[28:29], s[4:5], 0x44
	s_add_u32 flat_scratch_lo, s6, s10
	s_addc_u32 flat_scratch_hi, s7, 0
	s_add_u32 s0, s0, s10
	s_addc_u32 s1, s1, 0
	s_mov_b64 s[26:27], s[4:5]
	s_waitcnt lgkmcnt(0)
	s_and_b32 s4, s29, 0xffff
	s_mov_b32 s48, s9
	v_mov_b32_e32 v45, v2
	v_mov_b32_e32 v41, v1
	;; [unrolled: 1-line block ×3, first 2 shown]
	s_cmp_eq_u32 s4, 1
	s_mov_b32 s32, 0
	s_cbranch_scc1 .LBB4_2
; %bb.1:
	s_add_u32 s8, s26, 56
	s_addc_u32 s9, s27, 0
	s_getpc_b64 s[4:5]
	s_add_u32 s4, s4, .str@rel32@lo+4
	s_addc_u32 s5, s5, .str@rel32@hi+12
	s_getpc_b64 s[6:7]
	s_add_u32 s6, s6, __PRETTY_FUNCTION__._ZN9rocsolver6v33100L18potf2_kernel_smallIfllPfEEvbT0_T2_lS3_lPT1_@rel32@lo+4
	s_addc_u32 s7, s7, __PRETTY_FUNCTION__._ZN9rocsolver6v33100L18potf2_kernel_smallIfllPfEEvbT0_T2_lS3_lPT1_@rel32@hi+12
	s_getpc_b64 s[10:11]
	s_add_u32 s10, s10, __assert_fail@rel32@lo+4
	s_addc_u32 s11, s11, __assert_fail@rel32@hi+12
	v_mov_b32_e32 v0, s4
	v_mov_b32_e32 v1, s5
	;; [unrolled: 1-line block ×5, first 2 shown]
	s_swappc_b64 s[30:31], s[10:11]
	s_mov_b64 s[34:35], -1
	s_cbranch_execz .LBB4_3
	s_branch .LBB4_93
.LBB4_2:
	s_mov_b64 s[34:35], 0
.LBB4_3:
	s_load_dwordx8 s[36:43], s[26:27], 0x8
	s_waitcnt lgkmcnt(0)
	s_cmp_lg_u64 s[38:39], 0
	s_cbranch_scc0 .LBB4_9
; %bb.4:
	s_load_dwordx4 s[44:47], s[26:27], 0x28
	s_waitcnt lgkmcnt(0)
	s_cmp_lg_u64 s[46:47], 0
	s_cbranch_scc0 .LBB4_10
; %bb.5:
	s_cmp_lg_u64 s[38:39], 0
	s_mov_b64 s[4:5], 0
	s_cbranch_scc0 .LBB4_11
; %bb.6:
	s_load_dword s8, s[26:27], 0x0
	v_mov_b32_e32 v42, 0
	s_mov_b32 s49, 0
	s_mov_b64 s[6:7], -1
	s_waitcnt lgkmcnt(0)
	s_bitcmp1_b32 s8, 0
	s_cselect_b64 s[8:9], -1, 0
	s_lshr_b32 s56, s28, 16
	s_and_b32 s57, s28, 0xffff
	s_xor_b64 s[52:53], s[8:9], -1
	v_cmp_gt_i64_e64 s[28:29], s[36:37], v[41:42]
	s_and_b64 vcc, exec, s[52:53]
	s_barrier
	s_cbranch_vccnz .LBB4_12
; %bb.7:
	s_and_b64 vcc, exec, s[6:7]
	s_cbranch_vccnz .LBB4_27
.LBB4_8:
	s_and_saveexec_b64 s[50:51], s[4:5]
	s_cbranch_execnz .LBB4_34
	s_branch .LBB4_87
.LBB4_9:
	s_cbranch_execnz .LBB4_92
	s_branch .LBB4_93
.LBB4_10:
	s_cbranch_execnz .LBB4_90
	s_branch .LBB4_91
.LBB4_11:
	s_cbranch_execnz .LBB4_88
	s_branch .LBB4_89
.LBB4_12:
	s_mov_b64 s[4:5], -1
	s_and_saveexec_b64 s[50:51], s[28:29]
	s_cbranch_execz .LBB4_26
; %bb.13:
	v_mad_u64_u32 v[2:3], s[4:5], s42, v41, 0
	s_mul_i32 s8, s45, s48
	s_mul_hi_u32 s9, s44, s48
	v_mad_u64_u32 v[3:4], s[4:5], s43, v41, v[3:4]
	s_lshl_b64 s[6:7], s[36:37], 1
	s_add_i32 s5, s9, s8
	s_mul_i32 s4, s44, s48
	s_or_b32 s6, s6, 1
	s_lshl_b64 s[4:5], s[4:5], 2
	s_lshl_b64 s[8:9], s[40:41], 2
	v_lshlrev_b64 v[2:3], 2, v[2:3]
	s_add_u32 s4, s8, s4
	s_addc_u32 s5, s9, s5
	v_mov_b32_e32 v4, s5
	v_add_co_u32_e32 v2, vcc, s4, v2
	v_addc_co_u32_e32 v3, vcc, v4, v3, vcc
	v_add_lshl_u32 v4, v41, v43, 2
	v_add_co_u32_e32 v2, vcc, v2, v4
	s_lshl_b64 s[4:5], s[42:43], 2
	v_addc_co_u32_e32 v3, vcc, 0, v3, vcc
	s_add_u32 s4, s4, 4
	v_mov_b32_e32 v4, s39
	v_add_co_u32_e32 v2, vcc, s38, v2
	s_addc_u32 s5, s5, 0
	v_addc_co_u32_e32 v3, vcc, v4, v3, vcc
	s_mul_i32 s5, s5, s56
	s_mul_hi_u32 s8, s4, s56
	v_mov_b32_e32 v4, v41
	v_mov_b32_e32 v1, 0
	v_add_u32_e32 v0, v41, v43
	s_add_i32 s30, s8, s5
	s_mul_i32 s31, s4, s56
	s_lshl_b32 s33, s57, 2
	s_mov_b64 s[10:11], 0
	v_mov_b32_e32 v5, v42
                                        ; implicit-def: $sgpr8_sgpr9
                                        ; implicit-def: $sgpr12_sgpr13
	s_branch .LBB4_15
.LBB4_14:                               ;   in Loop: Header=BB4_15 Depth=1
	s_or_b64 exec, exec, s[4:5]
	s_and_b64 s[4:5], exec, s[14:15]
	s_or_b64 s[10:11], s[4:5], s[10:11]
	s_andn2_b64 s[4:5], s[8:9], exec
	s_and_b64 s[8:9], s[12:13], exec
	s_or_b64 s[8:9], s[4:5], s[8:9]
	s_andn2_b64 exec, exec, s[10:11]
	s_cbranch_execz .LBB4_23
.LBB4_15:                               ; =>This Loop Header: Depth=1
                                        ;     Child Loop BB4_18 Depth 2
	v_add_co_u32_e32 v6, vcc, v4, v43
	v_addc_co_u32_e32 v7, vcc, 0, v5, vcc
	v_cmp_gt_i64_e32 vcc, s[36:37], v[6:7]
	s_mov_b64 s[16:17], -1
	s_and_saveexec_b64 s[14:15], vcc
	s_cbranch_execz .LBB4_21
; %bb.16:                               ;   in Loop: Header=BB4_15 Depth=1
	v_mov_b32_e32 v8, s7
	v_sub_co_u32_e32 v9, vcc, s6, v4
	v_subb_co_u32_e32 v8, vcc, v8, v5, vcc
	v_mul_lo_u32 v10, v8, v4
	v_mul_lo_u32 v11, v9, v5
	v_mad_u64_u32 v[8:9], s[4:5], v9, v4, 0
	v_cmp_ge_u64_e32 vcc, v[0:1], v[4:5]
	s_mov_b64 s[16:17], 0
	v_add3_u32 v9, v9, v11, v10
	v_lshrrev_b32_e32 v9, 31, v9
	v_add_u32_e32 v8, v8, v9
	v_lshrrev_b32_e32 v8, 1, v8
	v_add_u32_e32 v8, v43, v8
	v_lshl_add_u32 v10, v8, 2, 0
	v_mov_b32_e32 v9, v3
	v_mov_b32_e32 v8, v2
                                        ; implicit-def: $sgpr18_sgpr19
                                        ; implicit-def: $sgpr22_sgpr23
                                        ; implicit-def: $sgpr20_sgpr21
	s_branch .LBB4_18
.LBB4_17:                               ;   in Loop: Header=BB4_18 Depth=2
	s_or_b64 exec, exec, s[24:25]
	s_xor_b64 s[4:5], s[20:21], -1
	s_and_b64 s[24:25], exec, s[22:23]
	s_or_b64 s[16:17], s[24:25], s[16:17]
	s_andn2_b64 s[18:19], s[18:19], exec
	s_and_b64 s[4:5], s[4:5], exec
	s_or_b64 s[18:19], s[18:19], s[4:5]
	s_andn2_b64 exec, exec, s[16:17]
	s_cbranch_execz .LBB4_20
.LBB4_18:                               ;   Parent Loop BB4_15 Depth=1
                                        ; =>  This Inner Loop Header: Depth=2
	s_or_b64 s[20:21], s[20:21], exec
	s_or_b64 s[22:23], s[22:23], exec
	s_and_saveexec_b64 s[24:25], vcc
	s_cbranch_execz .LBB4_17
; %bb.19:                               ;   in Loop: Header=BB4_18 Depth=2
	global_load_dword v11, v[8:9], off
	v_add_co_u32_e64 v6, s[4:5], s57, v6
	v_addc_co_u32_e64 v7, s[4:5], 0, v7, s[4:5]
	v_add_co_u32_e64 v8, s[4:5], s33, v8
	v_addc_co_u32_e64 v9, s[4:5], 0, v9, s[4:5]
	v_cmp_le_i64_e64 s[4:5], s[36:37], v[6:7]
	s_andn2_b64 s[22:23], s[22:23], exec
	s_and_b64 s[4:5], s[4:5], exec
	s_andn2_b64 s[20:21], s[20:21], exec
	s_or_b64 s[22:23], s[22:23], s[4:5]
	s_waitcnt vmcnt(0)
	ds_write_b32 v10, v11
	v_add_u32_e32 v10, s33, v10
	s_branch .LBB4_17
.LBB4_20:                               ;   in Loop: Header=BB4_15 Depth=1
	s_or_b64 exec, exec, s[16:17]
	s_orn2_b64 s[16:17], s[18:19], exec
.LBB4_21:                               ;   in Loop: Header=BB4_15 Depth=1
	s_or_b64 exec, exec, s[14:15]
	s_mov_b64 s[14:15], -1
	s_or_b64 s[12:13], s[12:13], exec
	s_and_saveexec_b64 s[4:5], s[16:17]
	s_cbranch_execz .LBB4_14
; %bb.22:                               ;   in Loop: Header=BB4_15 Depth=1
	v_add_co_u32_e32 v4, vcc, s56, v4
	v_addc_co_u32_e32 v5, vcc, 0, v5, vcc
	v_add_co_u32_e32 v0, vcc, s56, v0
	v_addc_co_u32_e32 v1, vcc, 0, v1, vcc
	v_mov_b32_e32 v6, s30
	v_add_co_u32_e32 v2, vcc, s31, v2
	v_addc_co_u32_e32 v3, vcc, v3, v6, vcc
	v_cmp_le_i64_e32 vcc, s[36:37], v[4:5]
	s_andn2_b64 s[12:13], s[12:13], exec
	s_orn2_b64 s[14:15], vcc, exec
	s_branch .LBB4_14
.LBB4_23:
	s_or_b64 exec, exec, s[10:11]
	s_mov_b64 s[4:5], -1
	s_mov_b64 s[6:7], s[34:35]
	s_and_saveexec_b64 s[10:11], s[8:9]
	s_xor_b64 s[54:55], exec, s[10:11]
	s_cbranch_execz .LBB4_25
; %bb.24:
	s_add_u32 s8, s26, 56
	s_addc_u32 s9, s27, 0
	s_getpc_b64 s[4:5]
	s_add_u32 s4, s4, .str.10@rel32@lo+4
	s_addc_u32 s5, s5, .str.10@rel32@hi+12
	s_getpc_b64 s[6:7]
	s_add_u32 s6, s6, __PRETTY_FUNCTION__._ZN9rocsolver6v33100L9idx_lowerIlEET_S2_S2_S2_@rel32@lo+4
	s_addc_u32 s7, s7, __PRETTY_FUNCTION__._ZN9rocsolver6v33100L9idx_lowerIlEET_S2_S2_S2_@rel32@hi+12
	s_getpc_b64 s[10:11]
	s_add_u32 s10, s10, __assert_fail@rel32@lo+4
	s_addc_u32 s11, s11, __assert_fail@rel32@hi+12
	v_mov_b32_e32 v0, s4
	v_mov_b32_e32 v1, s5
	v_mov_b32_e32 v2, 0x51
	v_mov_b32_e32 v3, s6
	v_mov_b32_e32 v4, s7
	s_swappc_b64 s[30:31], s[10:11]
	s_or_b64 s[6:7], s[34:35], exec
	s_xor_b64 s[4:5], exec, -1
.LBB4_25:
	s_or_b64 exec, exec, s[54:55]
	s_andn2_b64 s[8:9], s[34:35], exec
	s_and_b64 s[6:7], s[6:7], exec
	s_or_b64 s[34:35], s[8:9], s[6:7]
	s_orn2_b64 s[4:5], s[4:5], exec
.LBB4_26:
	s_or_b64 exec, exec, s[50:51]
	s_branch .LBB4_8
.LBB4_27:
	s_and_saveexec_b64 s[4:5], s[28:29]
	s_cbranch_execz .LBB4_33
; %bb.28:
	s_lshl_b64 s[6:7], s[36:37], 1
	v_mov_b32_e32 v0, s7
	v_sub_co_u32_e32 v1, vcc, s6, v43
	v_subbrev_co_u32_e32 v2, vcc, 0, v0, vcc
	v_add_co_u32_e32 v0, vcc, 1, v1
	v_addc_co_u32_e32 v1, vcc, 0, v2, vcc
	v_mad_u64_u32 v[2:3], s[6:7], s42, v41, 0
	s_mul_i32 s8, s45, s48
	s_mul_hi_u32 s9, s44, s48
	v_mad_u64_u32 v[3:4], s[6:7], s43, v41, v[3:4]
	s_add_i32 s7, s9, s8
	s_mul_i32 s6, s44, s48
	s_lshl_b64 s[6:7], s[6:7], 2
	s_lshl_b64 s[8:9], s[40:41], 2
	v_lshlrev_b64 v[2:3], 2, v[2:3]
	s_add_u32 s6, s8, s6
	s_addc_u32 s7, s9, s7
	v_mov_b32_e32 v4, s7
	v_add_co_u32_e32 v2, vcc, s6, v2
	v_addc_co_u32_e32 v3, vcc, v4, v3, vcc
	v_lshlrev_b32_e32 v4, 2, v43
	v_add_co_u32_e32 v2, vcc, v2, v4
	v_addc_co_u32_e32 v3, vcc, 0, v3, vcc
	v_mov_b32_e32 v4, s39
	v_add_co_u32_e32 v2, vcc, s38, v2
	s_mul_i32 s6, s43, s56
	s_mul_hi_u32 s7, s42, s56
	v_addc_co_u32_e32 v3, vcc, v4, v3, vcc
	s_add_i32 s7, s7, s6
	s_mul_i32 s6, s42, s56
	v_mov_b32_e32 v4, v41
	v_mov_b32_e32 v44, 0
	v_sub_u32_e32 v12, v41, v43
	s_lshl_b64 s[6:7], s[6:7], 2
	s_lshl_b32 s14, s57, 2
	s_mov_b64 s[8:9], 0
	v_mov_b32_e32 v5, v42
	s_branch .LBB4_30
.LBB4_29:                               ;   in Loop: Header=BB4_30 Depth=1
	s_or_b64 exec, exec, s[10:11]
	v_add_co_u32_e32 v4, vcc, s56, v4
	v_addc_co_u32_e32 v5, vcc, 0, v5, vcc
	v_cmp_le_i64_e32 vcc, s[36:37], v[4:5]
	v_mov_b32_e32 v6, s7
	s_or_b64 s[8:9], vcc, s[8:9]
	v_add_co_u32_e32 v2, vcc, s6, v2
	v_add_u32_e32 v12, s56, v12
	v_addc_co_u32_e32 v3, vcc, v3, v6, vcc
	s_andn2_b64 exec, exec, s[8:9]
	s_cbranch_execz .LBB4_33
.LBB4_30:                               ; =>This Loop Header: Depth=1
                                        ;     Child Loop BB4_32 Depth 2
	v_cmp_ge_u64_e32 vcc, v[4:5], v[43:44]
	s_and_saveexec_b64 s[10:11], vcc
	s_cbranch_execz .LBB4_29
; %bb.31:                               ;   in Loop: Header=BB4_30 Depth=1
	v_mov_b32_e32 v7, v3
	v_mov_b32_e32 v9, v1
	v_mov_b32_e32 v10, v43
	s_mov_b64 s[12:13], 0
	v_mov_b32_e32 v6, v2
	v_mov_b32_e32 v13, v12
	;; [unrolled: 1-line block ×4, first 2 shown]
.LBB4_32:                               ;   Parent Loop BB4_30 Depth=1
                                        ; =>  This Inner Loop Header: Depth=2
	global_load_dword v16, v[6:7], off
	v_mul_lo_u32 v17, v9, v10
	v_mul_lo_u32 v18, v8, v11
	v_mad_u64_u32 v[14:15], s[16:17], v8, v10, 0
	v_add_co_u32_e32 v10, vcc, s57, v10
	v_addc_co_u32_e32 v11, vcc, 0, v11, vcc
	v_subrev_co_u32_e32 v8, vcc, s57, v8
	v_subbrev_co_u32_e32 v9, vcc, 0, v9, vcc
	v_add3_u32 v15, v15, v18, v17
	v_add_co_u32_e32 v6, vcc, s14, v6
	v_lshrrev_b32_e32 v15, 31, v15
	v_addc_co_u32_e32 v7, vcc, 0, v7, vcc
	v_add_u32_e32 v14, v14, v15
	v_cmp_gt_u64_e32 vcc, v[10:11], v[4:5]
	v_lshrrev_b32_e32 v14, 1, v14
	v_add_u32_e32 v14, v13, v14
	s_or_b64 s[12:13], vcc, s[12:13]
	v_subrev_u32_e32 v13, s57, v13
	v_lshl_add_u32 v14, v14, 2, 0
	s_waitcnt vmcnt(0)
	ds_write_b32 v14, v16
	s_andn2_b64 exec, exec, s[12:13]
	s_cbranch_execnz .LBB4_32
	s_branch .LBB4_29
.LBB4_33:
	s_or_b64 exec, exec, s[4:5]
	s_mov_b64 s[4:5], -1
	s_and_saveexec_b64 s[50:51], s[4:5]
	s_cbranch_execz .LBB4_87
.LBB4_34:
	v_cmp_lt_i64_e64 s[4:5], s[36:37], 1
	s_waitcnt lgkmcnt(0)
	s_and_b64 vcc, exec, s[4:5]
	s_barrier
	s_cbranch_vccnz .LBB4_59
; %bb.35:
	s_mul_i32 s30, s56, s57
	v_mul_lo_u32 v0, s30, v45
	s_lshl_b64 s[4:5], s[48:49], 3
	s_add_u32 s10, s46, s4
	v_mul_u32_u24_e32 v1, s57, v41
	s_addc_u32 s11, s47, s5
	v_add3_u32 v6, v1, v43, v0
	s_lshl_b64 s[12:13], s[36:37], 1
	s_or_b32 s12, s12, 1
	v_cmp_eq_u32_e64 s[4:5], 0, v6
	v_mov_b32_e32 v7, 0
	s_lshl_b32 s31, s30, 2
	s_lshl_b32 s33, s57, 2
	v_sub_u32_e32 v8, v43, v41
	s_mov_b64 s[16:17], 0
	v_mov_b32_e32 v9, 0x180
	s_mov_b32 s46, 0xf800000
	v_mov_b32_e32 v10, 0x260
	s_mov_b64 s[14:15], 0
	s_branch .LBB4_37
.LBB4_36:                               ;   in Loop: Header=BB4_37 Depth=1
	s_andn2_b64 vcc, exec, s[8:9]
	s_cbranch_vccz .LBB4_59
.LBB4_37:                               ; =>This Loop Header: Depth=1
                                        ;     Child Loop BB4_48 Depth 2
                                        ;     Child Loop BB4_52 Depth 2
                                        ;       Child Loop BB4_55 Depth 3
	s_add_u32 s6, s16, s12
	s_addc_u32 s7, s17, s13
	s_mul_i32 s8, s6, s15
	s_mul_hi_u32 s9, s6, s14
	s_add_i32 s8, s9, s8
	s_mul_i32 s7, s7, s14
	s_add_i32 s8, s8, s7
	s_mul_i32 s6, s6, s14
	s_lshr_b32 s7, s8, 31
	s_add_u32 s6, s6, s7
	s_addc_u32 s7, s8, 0
	s_ashr_i64 s[18:19], s[6:7], 1
	s_lshl_b32 s6, s18, 2
	s_add_i32 s17, s6, 0
	v_mov_b32_e32 v0, s17
	ds_read_b32 v0, v0
	s_mov_b64 s[8:9], -1
	s_waitcnt lgkmcnt(0)
	v_cmp_class_f32_e64 s[6:7], v0, v9
	s_and_b64 vcc, exec, s[6:7]
	s_cbranch_vccz .LBB4_40
; %bb.38:                               ;   in Loop: Header=BB4_37 Depth=1
	s_andn2_b64 vcc, exec, s[8:9]
	s_cbranch_vccz .LBB4_44
.LBB4_39:                               ;   in Loop: Header=BB4_37 Depth=1
	s_mov_b64 s[8:9], -1
	s_and_b64 vcc, exec, s[6:7]
                                        ; implicit-def: $sgpr16_sgpr17
	s_cbranch_vccz .LBB4_36
	s_branch .LBB4_58
.LBB4_40:                               ;   in Loop: Header=BB4_37 Depth=1
	s_and_saveexec_b64 s[8:9], s[4:5]
	s_cbranch_execz .LBB4_43
; %bb.41:                               ;   in Loop: Header=BB4_37 Depth=1
	global_load_dwordx2 v[1:2], v7, s[10:11]
	s_waitcnt vmcnt(0)
	v_cmp_ne_u64_e32 vcc, 0, v[1:2]
	s_cbranch_vccnz .LBB4_43
; %bb.42:                               ;   in Loop: Header=BB4_37 Depth=1
	s_add_u32 s20, s14, 1
	s_addc_u32 s21, s15, 0
	v_mov_b32_e32 v1, s20
	v_mov_b32_e32 v2, s21
	global_store_dwordx2 v7, v[1:2], s[10:11]
.LBB4_43:                               ;   in Loop: Header=BB4_37 Depth=1
	s_or_b64 exec, exec, s[8:9]
	s_cbranch_execnz .LBB4_39
.LBB4_44:                               ;   in Loop: Header=BB4_37 Depth=1
	v_mul_f32_e32 v1, 0x4f800000, v0
	v_cmp_gt_f32_e32 vcc, s46, v0
	v_cndmask_b32_e32 v0, v0, v1, vcc
	v_sqrt_f32_e32 v1, v0
	v_add_u32_e32 v2, -1, v1
	v_fma_f32 v4, -v2, v1, v0
	v_add_u32_e32 v3, 1, v1
	v_cmp_ge_f32_e64 s[8:9], 0, v4
	v_cndmask_b32_e64 v2, v1, v2, s[8:9]
	v_fma_f32 v1, -v3, v1, v0
	v_cmp_lt_f32_e64 s[8:9], 0, v1
	v_cndmask_b32_e64 v1, v2, v3, s[8:9]
	v_mul_f32_e32 v2, 0x37800000, v1
	v_cndmask_b32_e32 v1, v1, v2, vcc
	v_cmp_class_f32_e32 vcc, v0, v10
	v_cndmask_b32_e32 v2, v1, v0, vcc
	s_and_saveexec_b64 s[8:9], s[4:5]
; %bb.45:                               ;   in Loop: Header=BB4_37 Depth=1
	v_mov_b32_e32 v0, s17
	ds_write_b32 v0, v2
; %bb.46:                               ;   in Loop: Header=BB4_37 Depth=1
	s_or_b64 exec, exec, s[8:9]
	s_add_u32 s17, s14, 1
	s_addc_u32 s19, s15, 0
	v_mov_b32_e32 v1, s19
	v_add_co_u32_e32 v0, vcc, s17, v6
	v_addc_co_u32_e32 v1, vcc, 0, v1, vcc
	v_cmp_gt_i64_e32 vcc, s[36:37], v[0:1]
	s_waitcnt vmcnt(0) lgkmcnt(0)
	s_barrier
	s_and_saveexec_b64 s[8:9], vcc
	s_cbranch_execz .LBB4_49
; %bb.47:                               ;   in Loop: Header=BB4_37 Depth=1
	v_add_lshl_u32 v3, v6, s18, 2
	v_add3_u32 v3, 0, 4, v3
	s_mov_b64 s[20:21], 0
.LBB4_48:                               ;   Parent Loop BB4_37 Depth=1
                                        ; =>  This Inner Loop Header: Depth=2
	ds_read_b32 v4, v3
	s_waitcnt lgkmcnt(0)
	v_div_scale_f32 v5, s[22:23], v2, v2, v4
	v_div_scale_f32 v11, vcc, v4, v2, v4
	v_rcp_f32_e32 v12, v5
	v_fma_f32 v13, -v5, v12, 1.0
	v_fmac_f32_e32 v12, v13, v12
	v_mul_f32_e32 v13, v11, v12
	v_fma_f32 v14, -v5, v13, v11
	v_fmac_f32_e32 v13, v14, v12
	v_fma_f32 v5, -v5, v13, v11
	v_div_fmas_f32 v5, v5, v12, v13
	v_add_co_u32_e32 v0, vcc, s30, v0
	v_addc_co_u32_e32 v1, vcc, 0, v1, vcc
	v_cmp_le_i64_e32 vcc, s[36:37], v[0:1]
	s_or_b64 s[20:21], vcc, s[20:21]
	v_div_fixup_f32 v4, v5, v2, v4
	ds_write_b32 v3, v4
	v_add_u32_e32 v3, s31, v3
	s_andn2_b64 exec, exec, s[20:21]
	s_cbranch_execnz .LBB4_48
.LBB4_49:                               ;   in Loop: Header=BB4_37 Depth=1
	s_or_b64 exec, exec, s[8:9]
	v_mov_b32_e32 v1, s19
	v_add_co_u32_e32 v0, vcc, s17, v41
	v_addc_co_u32_e32 v1, vcc, 0, v1, vcc
	v_cmp_gt_i64_e32 vcc, s[36:37], v[0:1]
	s_waitcnt lgkmcnt(0)
	s_barrier
	s_and_saveexec_b64 s[20:21], vcc
	s_cbranch_execz .LBB4_57
; %bb.50:                               ;   in Loop: Header=BB4_37 Depth=1
	v_mov_b32_e32 v3, s19
	v_add_co_u32_e32 v2, vcc, s17, v43
	v_addc_co_u32_e32 v3, vcc, 0, v3, vcc
	v_cmp_gt_i64_e32 vcc, s[36:37], v[2:3]
	s_add_u32 s47, s18, s16
	v_add_lshl_u32 v11, v43, s18, 2
	s_mov_b64 s[16:17], 0
	v_mov_b32_e32 v12, v8
	s_branch .LBB4_52
.LBB4_51:                               ;   in Loop: Header=BB4_52 Depth=2
	s_or_b64 exec, exec, s[18:19]
	v_add_co_u32_e64 v0, s[8:9], s56, v0
	v_addc_co_u32_e64 v1, s[8:9], 0, v1, s[8:9]
	v_cmp_le_i64_e64 s[8:9], s[36:37], v[0:1]
	v_subrev_u32_e32 v12, s56, v12
	s_or_b64 s[16:17], s[8:9], s[16:17]
	s_andn2_b64 exec, exec, s[16:17]
	s_cbranch_execz .LBB4_57
.LBB4_52:                               ;   Parent Loop BB4_37 Depth=1
                                        ; =>  This Loop Header: Depth=2
                                        ;       Child Loop BB4_55 Depth 3
	s_and_saveexec_b64 s[18:19], vcc
	s_cbranch_execz .LBB4_51
; %bb.53:                               ;   in Loop: Header=BB4_52 Depth=2
	v_mov_b32_e32 v4, s13
	v_sub_co_u32_e64 v5, s[8:9], s12, v0
	v_subb_co_u32_e64 v4, s[8:9], v4, v1, s[8:9]
	v_mul_lo_u32 v14, v4, v0
	v_mul_lo_u32 v15, v5, v1
	v_mad_u64_u32 v[4:5], s[8:9], v5, v0, 0
	s_waitcnt lgkmcnt(0)
	v_add_u32_e32 v13, s47, v0
	v_lshl_add_u32 v13, v13, 2, 0
	v_add3_u32 v5, v5, v15, v14
	ds_read_b32 v13, v13
	v_lshrrev_b32_e32 v5, 31, v5
	v_add_u32_e32 v4, v4, v5
	v_lshrrev_b32_e32 v4, 1, v4
	v_add_lshl_u32 v14, v12, v4, 2
	v_mov_b32_e32 v5, v3
	s_mov_b32 s49, 0
	s_mov_b64 s[22:23], 0
	v_mov_b32_e32 v4, v2
	s_branch .LBB4_55
.LBB4_54:                               ;   in Loop: Header=BB4_55 Depth=3
	s_or_b64 exec, exec, s[24:25]
	v_add_co_u32_e64 v4, s[8:9], s57, v4
	v_addc_co_u32_e64 v5, s[8:9], 0, v5, s[8:9]
	v_cmp_le_i64_e64 s[8:9], s[36:37], v[4:5]
	s_add_i32 s49, s49, s33
	s_or_b64 s[22:23], s[8:9], s[22:23]
	s_andn2_b64 exec, exec, s[22:23]
	s_cbranch_execz .LBB4_51
.LBB4_55:                               ;   Parent Loop BB4_37 Depth=1
                                        ;     Parent Loop BB4_52 Depth=2
                                        ; =>    This Inner Loop Header: Depth=3
	v_cmp_ge_u64_e64 s[8:9], v[4:5], v[0:1]
	s_and_saveexec_b64 s[24:25], s[8:9]
	s_cbranch_execz .LBB4_54
; %bb.56:                               ;   in Loop: Header=BB4_55 Depth=3
	v_add_u32_e32 v15, s49, v11
	v_add_u32_e32 v16, s49, v14
	ds_read_b32 v15, v15 offset:4
	ds_read_b32 v17, v16
	s_waitcnt lgkmcnt(0)
	v_fma_f32 v15, -v13, v15, v17
	ds_write_b32 v16, v15
	s_branch .LBB4_54
.LBB4_57:                               ;   in Loop: Header=BB4_37 Depth=1
	s_or_b64 exec, exec, s[20:21]
	s_waitcnt lgkmcnt(0)
	s_barrier
	s_mov_b64 s[8:9], -1
	s_and_b64 vcc, exec, s[6:7]
                                        ; implicit-def: $sgpr16_sgpr17
	s_cbranch_vccz .LBB4_36
.LBB4_58:                               ;   in Loop: Header=BB4_37 Depth=1
	s_add_u32 s6, s14, 1
	s_addc_u32 s7, s15, 0
	s_not_b64 s[16:17], s[14:15]
	s_cmp_eq_u64 s[6:7], s[36:37]
	s_cselect_b64 s[8:9], -1, 0
	s_mov_b64 s[14:15], s[6:7]
	s_branch .LBB4_36
.LBB4_59:
	s_andn2_b64 vcc, exec, s[52:53]
	s_waitcnt vmcnt(0)
	s_barrier
	s_cbranch_vccnz .LBB4_71
; %bb.60:
	s_mov_b64 s[6:7], -1
	s_mov_b64 s[4:5], s[34:35]
	s_and_saveexec_b64 s[46:47], s[28:29]
	s_cbranch_execz .LBB4_75
; %bb.61:
	v_mad_u64_u32 v[2:3], s[4:5], s42, v41, 0
	s_mul_i32 s8, s45, s48
	s_mul_hi_u32 s9, s44, s48
	v_mad_u64_u32 v[3:4], s[4:5], s43, v41, v[3:4]
	s_lshl_b64 s[6:7], s[36:37], 1
	s_add_i32 s5, s9, s8
	s_mul_i32 s4, s44, s48
	s_or_b32 s6, s6, 1
	s_lshl_b64 s[4:5], s[4:5], 2
	s_lshl_b64 s[8:9], s[40:41], 2
	v_lshlrev_b64 v[2:3], 2, v[2:3]
	s_add_u32 s4, s8, s4
	s_addc_u32 s5, s9, s5
	v_mov_b32_e32 v4, s5
	v_add_co_u32_e32 v2, vcc, s4, v2
	v_addc_co_u32_e32 v3, vcc, v4, v3, vcc
	v_add_lshl_u32 v4, v41, v43, 2
	v_add_co_u32_e32 v2, vcc, v2, v4
	s_lshl_b64 s[4:5], s[42:43], 2
	v_addc_co_u32_e32 v3, vcc, 0, v3, vcc
	s_add_u32 s4, s4, 4
	v_mov_b32_e32 v4, s39
	v_add_co_u32_e32 v2, vcc, s38, v2
	s_addc_u32 s5, s5, 0
	v_addc_co_u32_e32 v3, vcc, v4, v3, vcc
	s_mul_i32 s5, s5, s56
	s_mul_hi_u32 s8, s4, s56
	v_mov_b32_e32 v4, v41
	v_mov_b32_e32 v1, 0
	v_add_u32_e32 v0, v41, v43
	s_add_i32 s30, s8, s5
	s_mul_i32 s31, s4, s56
	s_lshl_b32 s33, s57, 2
	s_mov_b64 s[10:11], 0
	v_mov_b32_e32 v5, v42
                                        ; implicit-def: $sgpr8_sgpr9
                                        ; implicit-def: $sgpr12_sgpr13
	s_branch .LBB4_63
.LBB4_62:                               ;   in Loop: Header=BB4_63 Depth=1
	s_or_b64 exec, exec, s[4:5]
	s_and_b64 s[4:5], exec, s[14:15]
	s_or_b64 s[10:11], s[4:5], s[10:11]
	s_andn2_b64 s[4:5], s[8:9], exec
	s_and_b64 s[8:9], s[12:13], exec
	s_or_b64 s[8:9], s[4:5], s[8:9]
	s_andn2_b64 exec, exec, s[10:11]
	s_cbranch_execz .LBB4_72
.LBB4_63:                               ; =>This Loop Header: Depth=1
                                        ;     Child Loop BB4_66 Depth 2
	v_add_co_u32_e32 v6, vcc, v4, v43
	v_addc_co_u32_e32 v7, vcc, 0, v5, vcc
	v_cmp_gt_i64_e32 vcc, s[36:37], v[6:7]
	s_mov_b64 s[16:17], -1
	s_and_saveexec_b64 s[14:15], vcc
	s_cbranch_execz .LBB4_69
; %bb.64:                               ;   in Loop: Header=BB4_63 Depth=1
	v_mov_b32_e32 v8, s7
	v_sub_co_u32_e32 v9, vcc, s6, v4
	v_subb_co_u32_e32 v8, vcc, v8, v5, vcc
	v_mul_lo_u32 v10, v8, v4
	v_mul_lo_u32 v11, v9, v5
	v_mad_u64_u32 v[8:9], s[4:5], v9, v4, 0
	v_cmp_ge_u64_e32 vcc, v[0:1], v[4:5]
	s_mov_b64 s[16:17], 0
	v_add3_u32 v9, v9, v11, v10
	v_lshrrev_b32_e32 v9, 31, v9
	v_add_u32_e32 v8, v8, v9
	v_lshrrev_b32_e32 v8, 1, v8
	v_add_u32_e32 v8, v43, v8
	v_lshl_add_u32 v10, v8, 2, 0
	v_mov_b32_e32 v9, v3
	v_mov_b32_e32 v8, v2
                                        ; implicit-def: $sgpr18_sgpr19
                                        ; implicit-def: $sgpr22_sgpr23
                                        ; implicit-def: $sgpr20_sgpr21
	s_branch .LBB4_66
.LBB4_65:                               ;   in Loop: Header=BB4_66 Depth=2
	s_or_b64 exec, exec, s[24:25]
	s_xor_b64 s[4:5], s[20:21], -1
	s_and_b64 s[24:25], exec, s[22:23]
	s_or_b64 s[16:17], s[24:25], s[16:17]
	s_andn2_b64 s[18:19], s[18:19], exec
	s_and_b64 s[4:5], s[4:5], exec
	s_or_b64 s[18:19], s[18:19], s[4:5]
	s_andn2_b64 exec, exec, s[16:17]
	s_cbranch_execz .LBB4_68
.LBB4_66:                               ;   Parent Loop BB4_63 Depth=1
                                        ; =>  This Inner Loop Header: Depth=2
	s_or_b64 s[20:21], s[20:21], exec
	s_or_b64 s[22:23], s[22:23], exec
	s_and_saveexec_b64 s[24:25], vcc
	s_cbranch_execz .LBB4_65
; %bb.67:                               ;   in Loop: Header=BB4_66 Depth=2
	ds_read_b32 v11, v10
	v_add_co_u32_e64 v6, s[4:5], s57, v6
	v_addc_co_u32_e64 v7, s[4:5], 0, v7, s[4:5]
	s_waitcnt lgkmcnt(0)
	global_store_dword v[8:9], v11, off
	v_add_co_u32_e64 v8, s[4:5], s33, v8
	v_addc_co_u32_e64 v9, s[4:5], 0, v9, s[4:5]
	v_cmp_le_i64_e64 s[4:5], s[36:37], v[6:7]
	s_andn2_b64 s[22:23], s[22:23], exec
	s_and_b64 s[4:5], s[4:5], exec
	v_add_u32_e32 v10, s33, v10
	s_andn2_b64 s[20:21], s[20:21], exec
	s_or_b64 s[22:23], s[22:23], s[4:5]
	s_branch .LBB4_65
.LBB4_68:                               ;   in Loop: Header=BB4_63 Depth=1
	s_or_b64 exec, exec, s[16:17]
	s_orn2_b64 s[16:17], s[18:19], exec
.LBB4_69:                               ;   in Loop: Header=BB4_63 Depth=1
	s_or_b64 exec, exec, s[14:15]
	s_mov_b64 s[14:15], -1
	s_or_b64 s[12:13], s[12:13], exec
	s_and_saveexec_b64 s[4:5], s[16:17]
	s_cbranch_execz .LBB4_62
; %bb.70:                               ;   in Loop: Header=BB4_63 Depth=1
	v_add_co_u32_e32 v4, vcc, s56, v4
	v_addc_co_u32_e32 v5, vcc, 0, v5, vcc
	v_add_co_u32_e32 v0, vcc, s56, v0
	v_addc_co_u32_e32 v1, vcc, 0, v1, vcc
	v_mov_b32_e32 v6, s30
	v_add_co_u32_e32 v2, vcc, s31, v2
	v_addc_co_u32_e32 v3, vcc, v3, v6, vcc
	v_cmp_le_i64_e32 vcc, s[36:37], v[4:5]
	s_andn2_b64 s[12:13], s[12:13], exec
	s_orn2_b64 s[14:15], vcc, exec
	s_branch .LBB4_62
.LBB4_71:
	s_mov_b64 s[8:9], -1
	s_mov_b64 s[6:7], 0
	s_mov_b64 s[4:5], s[34:35]
	s_branch .LBB4_76
.LBB4_72:
	s_or_b64 exec, exec, s[10:11]
	s_mov_b64 s[6:7], -1
	s_mov_b64 s[4:5], s[34:35]
	s_and_saveexec_b64 s[10:11], s[8:9]
	s_xor_b64 s[52:53], exec, s[10:11]
	s_cbranch_execz .LBB4_74
; %bb.73:
	s_add_u32 s8, s26, 56
	s_addc_u32 s9, s27, 0
	s_getpc_b64 s[4:5]
	s_add_u32 s4, s4, .str.10@rel32@lo+4
	s_addc_u32 s5, s5, .str.10@rel32@hi+12
	s_getpc_b64 s[6:7]
	s_add_u32 s6, s6, __PRETTY_FUNCTION__._ZN9rocsolver6v33100L9idx_lowerIlEET_S2_S2_S2_@rel32@lo+4
	s_addc_u32 s7, s7, __PRETTY_FUNCTION__._ZN9rocsolver6v33100L9idx_lowerIlEET_S2_S2_S2_@rel32@hi+12
	s_getpc_b64 s[10:11]
	s_add_u32 s10, s10, __assert_fail@rel32@lo+4
	s_addc_u32 s11, s11, __assert_fail@rel32@hi+12
	v_mov_b32_e32 v0, s4
	v_mov_b32_e32 v1, s5
	;; [unrolled: 1-line block ×5, first 2 shown]
	s_swappc_b64 s[30:31], s[10:11]
	s_or_b64 s[4:5], s[34:35], exec
	s_xor_b64 s[6:7], exec, -1
.LBB4_74:
	s_or_b64 exec, exec, s[52:53]
	s_andn2_b64 s[8:9], s[34:35], exec
	s_and_b64 s[4:5], s[4:5], exec
	s_or_b64 s[4:5], s[8:9], s[4:5]
	s_orn2_b64 s[6:7], s[6:7], exec
.LBB4_75:
	s_or_b64 exec, exec, s[46:47]
	s_mov_b64 s[8:9], 0
.LBB4_76:
	s_and_b64 vcc, exec, s[8:9]
	s_cbranch_vccz .LBB4_84
; %bb.77:
	s_and_saveexec_b64 s[6:7], s[28:29]
	s_cbranch_execz .LBB4_83
; %bb.78:
	s_lshl_b64 s[8:9], s[36:37], 1
	v_mov_b32_e32 v0, s9
	v_sub_co_u32_e32 v1, vcc, s8, v43
	v_subbrev_co_u32_e32 v2, vcc, 0, v0, vcc
	v_add_co_u32_e32 v0, vcc, 1, v1
	v_addc_co_u32_e32 v1, vcc, 0, v2, vcc
	v_mad_u64_u32 v[2:3], s[8:9], s42, v41, 0
	s_mul_i32 s10, s45, s48
	s_mul_hi_u32 s11, s44, s48
	v_mad_u64_u32 v[3:4], s[8:9], s43, v41, v[3:4]
	s_add_i32 s9, s11, s10
	s_mul_i32 s8, s44, s48
	s_lshl_b64 s[8:9], s[8:9], 2
	s_lshl_b64 s[10:11], s[40:41], 2
	v_lshlrev_b64 v[2:3], 2, v[2:3]
	s_add_u32 s8, s10, s8
	s_addc_u32 s9, s11, s9
	v_mov_b32_e32 v4, s9
	v_add_co_u32_e32 v2, vcc, s8, v2
	v_addc_co_u32_e32 v3, vcc, v4, v3, vcc
	v_lshlrev_b32_e32 v4, 2, v43
	v_add_co_u32_e32 v2, vcc, v2, v4
	v_addc_co_u32_e32 v3, vcc, 0, v3, vcc
	s_mul_i32 s8, s43, s56
	s_mul_hi_u32 s9, s42, s56
	v_mov_b32_e32 v4, s39
	v_add_co_u32_e32 v2, vcc, s38, v2
	s_add_i32 s9, s9, s8
	s_mul_i32 s8, s42, s56
	v_mov_b32_e32 v44, 0
	v_sub_u32_e32 v10, v41, v43
	v_addc_co_u32_e32 v3, vcc, v4, v3, vcc
	s_lshl_b64 s[8:9], s[8:9], 2
	s_lshl_b32 s16, s57, 2
	s_mov_b64 s[10:11], 0
	s_branch .LBB4_80
.LBB4_79:                               ;   in Loop: Header=BB4_80 Depth=1
	s_or_b64 exec, exec, s[12:13]
	v_add_co_u32_e32 v41, vcc, s56, v41
	v_addc_co_u32_e32 v42, vcc, 0, v42, vcc
	v_cmp_le_i64_e32 vcc, s[36:37], v[41:42]
	v_mov_b32_e32 v4, s9
	s_or_b64 s[10:11], vcc, s[10:11]
	v_add_co_u32_e32 v2, vcc, s8, v2
	v_add_u32_e32 v10, s56, v10
	v_addc_co_u32_e32 v3, vcc, v3, v4, vcc
	s_andn2_b64 exec, exec, s[10:11]
	s_cbranch_execz .LBB4_83
.LBB4_80:                               ; =>This Loop Header: Depth=1
                                        ;     Child Loop BB4_82 Depth 2
	v_cmp_ge_u64_e32 vcc, v[41:42], v[43:44]
	s_and_saveexec_b64 s[12:13], vcc
	s_cbranch_execz .LBB4_79
; %bb.81:                               ;   in Loop: Header=BB4_80 Depth=1
	v_mov_b32_e32 v5, v3
	v_mov_b32_e32 v7, v1
	;; [unrolled: 1-line block ×3, first 2 shown]
	s_mov_b64 s[14:15], 0
	v_mov_b32_e32 v4, v2
	v_mov_b32_e32 v11, v10
	v_mov_b32_e32 v6, v0
	v_mov_b32_e32 v9, v44
.LBB4_82:                               ;   Parent Loop BB4_80 Depth=1
                                        ; =>  This Inner Loop Header: Depth=2
	v_mul_lo_u32 v14, v7, v8
	v_mul_lo_u32 v15, v6, v9
	v_mad_u64_u32 v[12:13], s[18:19], v6, v8, 0
	v_add_co_u32_e32 v8, vcc, s57, v8
	v_add3_u32 v13, v13, v15, v14
	v_lshrrev_b32_e32 v13, 31, v13
	v_add_u32_e32 v12, v12, v13
	v_lshrrev_b32_e32 v12, 1, v12
	v_add_u32_e32 v12, v11, v12
	v_lshl_add_u32 v12, v12, 2, 0
	v_addc_co_u32_e32 v9, vcc, 0, v9, vcc
	ds_read_b32 v12, v12
	v_subrev_co_u32_e32 v6, vcc, s57, v6
	v_subbrev_co_u32_e32 v7, vcc, 0, v7, vcc
	v_cmp_gt_u64_e32 vcc, v[8:9], v[41:42]
	s_waitcnt lgkmcnt(0)
	global_store_dword v[4:5], v12, off
	s_or_b64 s[14:15], vcc, s[14:15]
	v_add_co_u32_e32 v4, vcc, s16, v4
	v_subrev_u32_e32 v11, s57, v11
	v_addc_co_u32_e32 v5, vcc, 0, v5, vcc
	s_andn2_b64 exec, exec, s[14:15]
	s_cbranch_execnz .LBB4_82
	s_branch .LBB4_79
.LBB4_83:
	s_or_b64 exec, exec, s[6:7]
	s_mov_b64 s[6:7], -1
.LBB4_84:
	s_and_saveexec_b64 s[8:9], s[6:7]
	s_xor_b64 s[6:7], exec, s[8:9]
	s_cbranch_execz .LBB4_86
; %bb.85:
	s_waitcnt vmcnt(0)
	s_barrier
.LBB4_86:
	s_or_b64 exec, exec, s[6:7]
	s_andn2_b64 s[6:7], s[34:35], exec
	s_and_b64 s[4:5], s[4:5], exec
	s_or_b64 s[34:35], s[6:7], s[4:5]
.LBB4_87:
	s_or_b64 exec, exec, s[50:51]
	s_branch .LBB4_89
.LBB4_88:
	s_add_u32 s8, s26, 56
	s_addc_u32 s9, s27, 0
	s_getpc_b64 s[4:5]
	s_add_u32 s4, s4, .str.4@rel32@lo+4
	s_addc_u32 s5, s5, .str.4@rel32@hi+12
	s_getpc_b64 s[6:7]
	s_add_u32 s6, s6, __PRETTY_FUNCTION__._ZN9rocsolver6v33100L18potf2_kernel_smallIfllPfEEvbT0_T2_lS3_lPT1_@rel32@lo+4
	s_addc_u32 s7, s7, __PRETTY_FUNCTION__._ZN9rocsolver6v33100L18potf2_kernel_smallIfllPfEEvbT0_T2_lS3_lPT1_@rel32@hi+12
	s_getpc_b64 s[10:11]
	s_add_u32 s10, s10, __assert_fail@rel32@lo+4
	s_addc_u32 s11, s11, __assert_fail@rel32@hi+12
	v_mov_b32_e32 v0, s4
	v_mov_b32_e32 v1, s5
	;; [unrolled: 1-line block ×5, first 2 shown]
	s_swappc_b64 s[30:31], s[10:11]
	s_or_b64 s[34:35], s[34:35], exec
.LBB4_89:
	s_branch .LBB4_91
.LBB4_90:
	s_add_u32 s8, s26, 56
	s_addc_u32 s9, s27, 0
	s_getpc_b64 s[4:5]
	s_add_u32 s4, s4, .str.3@rel32@lo+4
	s_addc_u32 s5, s5, .str.3@rel32@hi+12
	s_getpc_b64 s[6:7]
	s_add_u32 s6, s6, __PRETTY_FUNCTION__._ZN9rocsolver6v33100L18potf2_kernel_smallIfllPfEEvbT0_T2_lS3_lPT1_@rel32@lo+4
	s_addc_u32 s7, s7, __PRETTY_FUNCTION__._ZN9rocsolver6v33100L18potf2_kernel_smallIfllPfEEvbT0_T2_lS3_lPT1_@rel32@hi+12
	s_getpc_b64 s[10:11]
	s_add_u32 s10, s10, __assert_fail@rel32@lo+4
	s_addc_u32 s11, s11, __assert_fail@rel32@hi+12
	v_mov_b32_e32 v0, s4
	v_mov_b32_e32 v1, s5
	;; [unrolled: 1-line block ×5, first 2 shown]
	s_swappc_b64 s[30:31], s[10:11]
	s_or_b64 s[34:35], s[34:35], exec
.LBB4_91:
	s_branch .LBB4_93
.LBB4_92:
	s_add_u32 s8, s26, 56
	s_addc_u32 s9, s27, 0
	s_getpc_b64 s[4:5]
	s_add_u32 s4, s4, .str.2@rel32@lo+4
	s_addc_u32 s5, s5, .str.2@rel32@hi+12
	s_getpc_b64 s[6:7]
	s_add_u32 s6, s6, __PRETTY_FUNCTION__._ZN9rocsolver6v33100L18potf2_kernel_smallIfllPfEEvbT0_T2_lS3_lPT1_@rel32@lo+4
	s_addc_u32 s7, s7, __PRETTY_FUNCTION__._ZN9rocsolver6v33100L18potf2_kernel_smallIfllPfEEvbT0_T2_lS3_lPT1_@rel32@hi+12
	s_getpc_b64 s[10:11]
	s_add_u32 s10, s10, __assert_fail@rel32@lo+4
	s_addc_u32 s11, s11, __assert_fail@rel32@hi+12
	v_mov_b32_e32 v0, s4
	v_mov_b32_e32 v1, s5
	;; [unrolled: 1-line block ×5, first 2 shown]
	s_swappc_b64 s[30:31], s[10:11]
	s_or_b64 s[34:35], s[34:35], exec
.LBB4_93:
	s_and_saveexec_b64 s[4:5], s[34:35]
; %bb.94:
	; divergent unreachable
; %bb.95:
	s_endpgm
	.section	.rodata,"a",@progbits
	.p2align	6, 0x0
	.amdhsa_kernel _ZN9rocsolver6v33100L18potf2_kernel_smallIfllPfEEvbT0_T2_lS3_lPT1_
		.amdhsa_group_segment_fixed_size 0
		.amdhsa_private_segment_fixed_size 64
		.amdhsa_kernarg_size 312
		.amdhsa_user_sgpr_count 8
		.amdhsa_user_sgpr_private_segment_buffer 1
		.amdhsa_user_sgpr_dispatch_ptr 0
		.amdhsa_user_sgpr_queue_ptr 0
		.amdhsa_user_sgpr_kernarg_segment_ptr 1
		.amdhsa_user_sgpr_dispatch_id 0
		.amdhsa_user_sgpr_flat_scratch_init 1
		.amdhsa_user_sgpr_private_segment_size 0
		.amdhsa_uses_dynamic_stack 0
		.amdhsa_system_sgpr_private_segment_wavefront_offset 1
		.amdhsa_system_sgpr_workgroup_id_x 1
		.amdhsa_system_sgpr_workgroup_id_y 0
		.amdhsa_system_sgpr_workgroup_id_z 1
		.amdhsa_system_sgpr_workgroup_info 0
		.amdhsa_system_vgpr_workitem_id 2
		.amdhsa_next_free_vgpr 51
		.amdhsa_next_free_sgpr 58
		.amdhsa_reserve_vcc 1
		.amdhsa_reserve_flat_scratch 1
		.amdhsa_float_round_mode_32 0
		.amdhsa_float_round_mode_16_64 0
		.amdhsa_float_denorm_mode_32 3
		.amdhsa_float_denorm_mode_16_64 3
		.amdhsa_dx10_clamp 1
		.amdhsa_ieee_mode 1
		.amdhsa_fp16_overflow 0
		.amdhsa_exception_fp_ieee_invalid_op 0
		.amdhsa_exception_fp_denorm_src 0
		.amdhsa_exception_fp_ieee_div_zero 0
		.amdhsa_exception_fp_ieee_overflow 0
		.amdhsa_exception_fp_ieee_underflow 0
		.amdhsa_exception_fp_ieee_inexact 0
		.amdhsa_exception_int_div_zero 0
	.end_amdhsa_kernel
	.section	.text._ZN9rocsolver6v33100L18potf2_kernel_smallIfllPfEEvbT0_T2_lS3_lPT1_,"axG",@progbits,_ZN9rocsolver6v33100L18potf2_kernel_smallIfllPfEEvbT0_T2_lS3_lPT1_,comdat
.Lfunc_end4:
	.size	_ZN9rocsolver6v33100L18potf2_kernel_smallIfllPfEEvbT0_T2_lS3_lPT1_, .Lfunc_end4-_ZN9rocsolver6v33100L18potf2_kernel_smallIfllPfEEvbT0_T2_lS3_lPT1_
                                        ; -- End function
	.set _ZN9rocsolver6v33100L18potf2_kernel_smallIfllPfEEvbT0_T2_lS3_lPT1_.num_vgpr, max(46, .L__assert_fail.num_vgpr)
	.set _ZN9rocsolver6v33100L18potf2_kernel_smallIfllPfEEvbT0_T2_lS3_lPT1_.num_agpr, max(0, .L__assert_fail.num_agpr)
	.set _ZN9rocsolver6v33100L18potf2_kernel_smallIfllPfEEvbT0_T2_lS3_lPT1_.numbered_sgpr, max(58, .L__assert_fail.numbered_sgpr)
	.set _ZN9rocsolver6v33100L18potf2_kernel_smallIfllPfEEvbT0_T2_lS3_lPT1_.num_named_barrier, max(0, .L__assert_fail.num_named_barrier)
	.set _ZN9rocsolver6v33100L18potf2_kernel_smallIfllPfEEvbT0_T2_lS3_lPT1_.private_seg_size, 0+max(.L__assert_fail.private_seg_size)
	.set _ZN9rocsolver6v33100L18potf2_kernel_smallIfllPfEEvbT0_T2_lS3_lPT1_.uses_vcc, or(1, .L__assert_fail.uses_vcc)
	.set _ZN9rocsolver6v33100L18potf2_kernel_smallIfllPfEEvbT0_T2_lS3_lPT1_.uses_flat_scratch, or(1, .L__assert_fail.uses_flat_scratch)
	.set _ZN9rocsolver6v33100L18potf2_kernel_smallIfllPfEEvbT0_T2_lS3_lPT1_.has_dyn_sized_stack, or(0, .L__assert_fail.has_dyn_sized_stack)
	.set _ZN9rocsolver6v33100L18potf2_kernel_smallIfllPfEEvbT0_T2_lS3_lPT1_.has_recursion, or(0, .L__assert_fail.has_recursion)
	.set _ZN9rocsolver6v33100L18potf2_kernel_smallIfllPfEEvbT0_T2_lS3_lPT1_.has_indirect_call, or(0, .L__assert_fail.has_indirect_call)
	.section	.AMDGPU.csdata,"",@progbits
; Kernel info:
; codeLenInByte = 3904
; TotalNumSgprs: 64
; NumVgprs: 51
; ScratchSize: 64
; MemoryBound: 1
; FloatMode: 240
; IeeeMode: 1
; LDSByteSize: 0 bytes/workgroup (compile time only)
; SGPRBlocks: 7
; VGPRBlocks: 12
; NumSGPRsForWavesPerEU: 64
; NumVGPRsForWavesPerEU: 51
; Occupancy: 4
; WaveLimiterHint : 1
; COMPUTE_PGM_RSRC2:SCRATCH_EN: 1
; COMPUTE_PGM_RSRC2:USER_SGPR: 8
; COMPUTE_PGM_RSRC2:TRAP_HANDLER: 0
; COMPUTE_PGM_RSRC2:TGID_X_EN: 1
; COMPUTE_PGM_RSRC2:TGID_Y_EN: 0
; COMPUTE_PGM_RSRC2:TGID_Z_EN: 1
; COMPUTE_PGM_RSRC2:TIDIG_COMP_CNT: 2
	.section	.text._ZN9rocsolver6v33100L18potf2_kernel_smallIfllPKPfEEvbT0_T2_lS5_lPT1_,"axG",@progbits,_ZN9rocsolver6v33100L18potf2_kernel_smallIfllPKPfEEvbT0_T2_lS5_lPT1_,comdat
	.globl	_ZN9rocsolver6v33100L18potf2_kernel_smallIfllPKPfEEvbT0_T2_lS5_lPT1_ ; -- Begin function _ZN9rocsolver6v33100L18potf2_kernel_smallIfllPKPfEEvbT0_T2_lS5_lPT1_
	.p2align	8
	.type	_ZN9rocsolver6v33100L18potf2_kernel_smallIfllPKPfEEvbT0_T2_lS5_lPT1_,@function
_ZN9rocsolver6v33100L18potf2_kernel_smallIfllPKPfEEvbT0_T2_lS5_lPT1_: ; @_ZN9rocsolver6v33100L18potf2_kernel_smallIfllPKPfEEvbT0_T2_lS5_lPT1_
; %bb.0:
	s_load_dwordx2 s[28:29], s[4:5], 0x44
	s_add_u32 flat_scratch_lo, s6, s10
	s_addc_u32 flat_scratch_hi, s7, 0
	s_add_u32 s0, s0, s10
	s_addc_u32 s1, s1, 0
	s_mov_b64 s[26:27], s[4:5]
	s_waitcnt lgkmcnt(0)
	s_and_b32 s4, s29, 0xffff
	s_mov_b32 s44, s9
	v_mov_b32_e32 v45, v2
	v_mov_b32_e32 v41, v1
	;; [unrolled: 1-line block ×3, first 2 shown]
	s_cmp_eq_u32 s4, 1
	s_mov_b32 s32, 0
	s_cbranch_scc1 .LBB5_2
; %bb.1:
	s_add_u32 s8, s26, 56
	s_addc_u32 s9, s27, 0
	s_getpc_b64 s[4:5]
	s_add_u32 s4, s4, .str@rel32@lo+4
	s_addc_u32 s5, s5, .str@rel32@hi+12
	s_getpc_b64 s[6:7]
	s_add_u32 s6, s6, __PRETTY_FUNCTION__._ZN9rocsolver6v33100L18potf2_kernel_smallIfllPKPfEEvbT0_T2_lS5_lPT1_@rel32@lo+4
	s_addc_u32 s7, s7, __PRETTY_FUNCTION__._ZN9rocsolver6v33100L18potf2_kernel_smallIfllPKPfEEvbT0_T2_lS5_lPT1_@rel32@hi+12
	s_getpc_b64 s[10:11]
	s_add_u32 s10, s10, __assert_fail@rel32@lo+4
	s_addc_u32 s11, s11, __assert_fail@rel32@hi+12
	v_mov_b32_e32 v0, s4
	v_mov_b32_e32 v1, s5
	v_mov_b32_e32 v2, 0x125
	v_mov_b32_e32 v3, s6
	v_mov_b32_e32 v4, s7
	s_swappc_b64 s[30:31], s[10:11]
	s_mov_b64 s[34:35], -1
	s_cbranch_execz .LBB5_3
	s_branch .LBB5_93
.LBB5_2:
	s_mov_b64 s[34:35], 0
.LBB5_3:
	s_load_dwordx8 s[36:43], s[26:27], 0x8
	s_waitcnt lgkmcnt(0)
	s_cmp_lg_u64 s[38:39], 0
	s_cbranch_scc0 .LBB5_9
; %bb.4:
	s_load_dwordx2 s[46:47], s[26:27], 0x30
	s_waitcnt lgkmcnt(0)
	s_cmp_lg_u64 s[46:47], 0
	s_cbranch_scc0 .LBB5_10
; %bb.5:
	s_mov_b32 s45, 0
	s_lshl_b64 s[48:49], s[44:45], 3
	s_add_u32 s4, s38, s48
	s_addc_u32 s5, s39, s49
	v_mov_b32_e32 v42, 0
	global_load_dwordx2 v[46:47], v42, s[4:5]
	s_mov_b64 s[4:5], 0
	s_waitcnt vmcnt(0)
	v_cmp_ne_u64_e32 vcc, 0, v[46:47]
	s_cbranch_vccz .LBB5_11
; %bb.6:
	s_load_dword s8, s[26:27], 0x0
	s_mov_b64 s[6:7], -1
	s_waitcnt lgkmcnt(0)
	s_barrier
	s_bitcmp1_b32 s8, 0
	s_cselect_b64 s[8:9], -1, 0
	s_lshr_b32 s52, s28, 16
	s_and_b32 s53, s28, 0xffff
	s_xor_b64 s[44:45], s[8:9], -1
	v_cmp_gt_i64_e64 s[28:29], s[36:37], v[41:42]
	s_and_b64 vcc, exec, s[44:45]
	s_cbranch_vccnz .LBB5_12
; %bb.7:
	s_and_b64 vcc, exec, s[6:7]
	s_cbranch_vccnz .LBB5_27
.LBB5_8:
	s_and_saveexec_b64 s[38:39], s[4:5]
	s_cbranch_execnz .LBB5_34
	s_branch .LBB5_87
.LBB5_9:
	s_cbranch_execnz .LBB5_92
	s_branch .LBB5_93
.LBB5_10:
	s_cbranch_execnz .LBB5_90
	s_branch .LBB5_91
.LBB5_11:
	s_cbranch_execnz .LBB5_88
	s_branch .LBB5_89
.LBB5_12:
	s_mov_b64 s[4:5], -1
	s_and_saveexec_b64 s[38:39], s[28:29]
	s_cbranch_execz .LBB5_26
; %bb.13:
	v_mad_u64_u32 v[2:3], s[4:5], s42, v41, 0
	v_mov_b32_e32 v1, 0
	s_lshl_b64 s[6:7], s[36:37], 1
	v_mov_b32_e32 v0, v3
	v_mad_u64_u32 v[3:4], s[4:5], s43, v41, v[0:1]
	s_lshl_b64 s[4:5], s[40:41], 2
	v_mov_b32_e32 v4, s5
	v_lshlrev_b64 v[2:3], 2, v[2:3]
	s_or_b32 s6, s6, 1
	v_add_co_u32_e32 v2, vcc, s4, v2
	v_addc_co_u32_e32 v3, vcc, v3, v4, vcc
	v_add_lshl_u32 v4, v41, v43, 2
	s_lshl_b64 s[4:5], s[42:43], 2
	v_add_co_u32_e32 v2, vcc, v2, v4
	s_add_u32 s4, s4, 4
	v_addc_co_u32_e32 v3, vcc, 0, v3, vcc
	s_addc_u32 s5, s5, 0
	v_add_co_u32_e32 v2, vcc, v46, v2
	s_mul_i32 s5, s5, s52
	s_mul_hi_u32 s8, s4, s52
	v_mov_b32_e32 v4, v41
	v_add_u32_e32 v0, v41, v43
	v_addc_co_u32_e32 v3, vcc, v47, v3, vcc
	s_add_i32 s30, s8, s5
	s_mul_i32 s31, s4, s52
	s_lshl_b32 s33, s53, 2
	s_mov_b64 s[10:11], 0
	v_mov_b32_e32 v5, v42
                                        ; implicit-def: $sgpr8_sgpr9
                                        ; implicit-def: $sgpr12_sgpr13
	s_branch .LBB5_15
.LBB5_14:                               ;   in Loop: Header=BB5_15 Depth=1
	s_or_b64 exec, exec, s[4:5]
	s_and_b64 s[4:5], exec, s[14:15]
	s_or_b64 s[10:11], s[4:5], s[10:11]
	s_andn2_b64 s[4:5], s[8:9], exec
	s_and_b64 s[8:9], s[12:13], exec
	s_or_b64 s[8:9], s[4:5], s[8:9]
	s_andn2_b64 exec, exec, s[10:11]
	s_cbranch_execz .LBB5_23
.LBB5_15:                               ; =>This Loop Header: Depth=1
                                        ;     Child Loop BB5_18 Depth 2
	v_add_co_u32_e32 v6, vcc, v4, v43
	v_addc_co_u32_e32 v7, vcc, 0, v5, vcc
	v_cmp_gt_i64_e32 vcc, s[36:37], v[6:7]
	s_mov_b64 s[16:17], -1
	s_and_saveexec_b64 s[14:15], vcc
	s_cbranch_execz .LBB5_21
; %bb.16:                               ;   in Loop: Header=BB5_15 Depth=1
	v_mov_b32_e32 v8, s7
	v_sub_co_u32_e32 v9, vcc, s6, v4
	v_subb_co_u32_e32 v8, vcc, v8, v5, vcc
	v_mul_lo_u32 v10, v8, v4
	v_mul_lo_u32 v11, v9, v5
	v_mad_u64_u32 v[8:9], s[4:5], v9, v4, 0
	v_cmp_ge_u64_e32 vcc, v[0:1], v[4:5]
	s_mov_b64 s[16:17], 0
	v_add3_u32 v9, v9, v11, v10
	v_lshrrev_b32_e32 v9, 31, v9
	v_add_u32_e32 v8, v8, v9
	v_lshrrev_b32_e32 v8, 1, v8
	v_add_u32_e32 v8, v43, v8
	v_lshl_add_u32 v10, v8, 2, 0
	v_mov_b32_e32 v9, v3
	v_mov_b32_e32 v8, v2
                                        ; implicit-def: $sgpr18_sgpr19
                                        ; implicit-def: $sgpr22_sgpr23
                                        ; implicit-def: $sgpr20_sgpr21
	s_branch .LBB5_18
.LBB5_17:                               ;   in Loop: Header=BB5_18 Depth=2
	s_or_b64 exec, exec, s[24:25]
	s_xor_b64 s[4:5], s[20:21], -1
	s_and_b64 s[24:25], exec, s[22:23]
	s_or_b64 s[16:17], s[24:25], s[16:17]
	s_andn2_b64 s[18:19], s[18:19], exec
	s_and_b64 s[4:5], s[4:5], exec
	s_or_b64 s[18:19], s[18:19], s[4:5]
	s_andn2_b64 exec, exec, s[16:17]
	s_cbranch_execz .LBB5_20
.LBB5_18:                               ;   Parent Loop BB5_15 Depth=1
                                        ; =>  This Inner Loop Header: Depth=2
	s_or_b64 s[20:21], s[20:21], exec
	s_or_b64 s[22:23], s[22:23], exec
	s_and_saveexec_b64 s[24:25], vcc
	s_cbranch_execz .LBB5_17
; %bb.19:                               ;   in Loop: Header=BB5_18 Depth=2
	flat_load_dword v11, v[8:9]
	v_add_co_u32_e64 v6, s[4:5], s53, v6
	v_addc_co_u32_e64 v7, s[4:5], 0, v7, s[4:5]
	v_add_co_u32_e64 v8, s[4:5], s33, v8
	v_addc_co_u32_e64 v9, s[4:5], 0, v9, s[4:5]
	v_cmp_le_i64_e64 s[4:5], s[36:37], v[6:7]
	s_andn2_b64 s[22:23], s[22:23], exec
	s_and_b64 s[4:5], s[4:5], exec
	s_andn2_b64 s[20:21], s[20:21], exec
	s_or_b64 s[22:23], s[22:23], s[4:5]
	s_waitcnt vmcnt(0) lgkmcnt(0)
	ds_write_b32 v10, v11
	v_add_u32_e32 v10, s33, v10
	s_branch .LBB5_17
.LBB5_20:                               ;   in Loop: Header=BB5_15 Depth=1
	s_or_b64 exec, exec, s[16:17]
	s_orn2_b64 s[16:17], s[18:19], exec
.LBB5_21:                               ;   in Loop: Header=BB5_15 Depth=1
	s_or_b64 exec, exec, s[14:15]
	s_mov_b64 s[14:15], -1
	s_or_b64 s[12:13], s[12:13], exec
	s_and_saveexec_b64 s[4:5], s[16:17]
	s_cbranch_execz .LBB5_14
; %bb.22:                               ;   in Loop: Header=BB5_15 Depth=1
	v_add_co_u32_e32 v4, vcc, s52, v4
	v_addc_co_u32_e32 v5, vcc, 0, v5, vcc
	v_add_co_u32_e32 v0, vcc, s52, v0
	v_addc_co_u32_e32 v1, vcc, 0, v1, vcc
	v_mov_b32_e32 v6, s30
	v_add_co_u32_e32 v2, vcc, s31, v2
	v_addc_co_u32_e32 v3, vcc, v3, v6, vcc
	v_cmp_le_i64_e32 vcc, s[36:37], v[4:5]
	s_andn2_b64 s[12:13], s[12:13], exec
	s_orn2_b64 s[14:15], vcc, exec
	s_branch .LBB5_14
.LBB5_23:
	s_or_b64 exec, exec, s[10:11]
	s_mov_b64 s[4:5], -1
	s_mov_b64 s[6:7], s[34:35]
	s_and_saveexec_b64 s[10:11], s[8:9]
	s_xor_b64 s[50:51], exec, s[10:11]
	s_cbranch_execz .LBB5_25
; %bb.24:
	s_add_u32 s8, s26, 56
	s_addc_u32 s9, s27, 0
	s_getpc_b64 s[4:5]
	s_add_u32 s4, s4, .str.10@rel32@lo+4
	s_addc_u32 s5, s5, .str.10@rel32@hi+12
	s_getpc_b64 s[6:7]
	s_add_u32 s6, s6, __PRETTY_FUNCTION__._ZN9rocsolver6v33100L9idx_lowerIlEET_S2_S2_S2_@rel32@lo+4
	s_addc_u32 s7, s7, __PRETTY_FUNCTION__._ZN9rocsolver6v33100L9idx_lowerIlEET_S2_S2_S2_@rel32@hi+12
	s_getpc_b64 s[10:11]
	s_add_u32 s10, s10, __assert_fail@rel32@lo+4
	s_addc_u32 s11, s11, __assert_fail@rel32@hi+12
	v_mov_b32_e32 v0, s4
	v_mov_b32_e32 v1, s5
	;; [unrolled: 1-line block ×5, first 2 shown]
	s_swappc_b64 s[30:31], s[10:11]
	s_or_b64 s[6:7], s[34:35], exec
	s_xor_b64 s[4:5], exec, -1
.LBB5_25:
	s_or_b64 exec, exec, s[50:51]
	s_andn2_b64 s[8:9], s[34:35], exec
	s_and_b64 s[6:7], s[6:7], exec
	s_or_b64 s[34:35], s[8:9], s[6:7]
	s_orn2_b64 s[4:5], s[4:5], exec
.LBB5_26:
	s_or_b64 exec, exec, s[38:39]
	s_branch .LBB5_8
.LBB5_27:
	s_and_saveexec_b64 s[4:5], s[28:29]
	s_cbranch_execz .LBB5_33
; %bb.28:
	v_mad_u64_u32 v[2:3], s[8:9], s42, v41, 0
	s_lshl_b64 s[6:7], s[36:37], 1
	v_mov_b32_e32 v0, s7
	v_sub_co_u32_e32 v1, vcc, s6, v43
	v_subbrev_co_u32_e32 v5, vcc, 0, v0, vcc
	v_mov_b32_e32 v0, v3
	v_mad_u64_u32 v[3:4], s[6:7], s43, v41, v[0:1]
	v_add_co_u32_e32 v0, vcc, 1, v1
	v_lshlrev_b64 v[2:3], 2, v[2:3]
	v_addc_co_u32_e32 v1, vcc, 0, v5, vcc
	s_lshl_b64 s[6:7], s[40:41], 2
	v_mov_b32_e32 v4, s7
	v_add_co_u32_e32 v2, vcc, s6, v2
	v_addc_co_u32_e32 v3, vcc, v3, v4, vcc
	v_lshlrev_b32_e32 v4, 2, v43
	v_add_co_u32_e32 v2, vcc, v2, v4
	v_addc_co_u32_e32 v3, vcc, 0, v3, vcc
	s_mul_i32 s6, s43, s52
	s_mul_hi_u32 s7, s42, s52
	v_add_co_u32_e32 v2, vcc, v46, v2
	s_add_i32 s7, s7, s6
	s_mul_i32 s6, s42, s52
	v_mov_b32_e32 v4, v41
	v_mov_b32_e32 v44, 0
	v_sub_u32_e32 v12, v41, v43
	v_addc_co_u32_e32 v3, vcc, v47, v3, vcc
	s_lshl_b64 s[6:7], s[6:7], 2
	s_lshl_b32 s14, s53, 2
	s_mov_b64 s[8:9], 0
	v_mov_b32_e32 v5, v42
	s_branch .LBB5_30
.LBB5_29:                               ;   in Loop: Header=BB5_30 Depth=1
	s_or_b64 exec, exec, s[10:11]
	v_add_co_u32_e32 v4, vcc, s52, v4
	v_addc_co_u32_e32 v5, vcc, 0, v5, vcc
	v_cmp_le_i64_e32 vcc, s[36:37], v[4:5]
	v_mov_b32_e32 v6, s7
	s_or_b64 s[8:9], vcc, s[8:9]
	v_add_co_u32_e32 v2, vcc, s6, v2
	v_add_u32_e32 v12, s52, v12
	v_addc_co_u32_e32 v3, vcc, v3, v6, vcc
	s_andn2_b64 exec, exec, s[8:9]
	s_cbranch_execz .LBB5_33
.LBB5_30:                               ; =>This Loop Header: Depth=1
                                        ;     Child Loop BB5_32 Depth 2
	v_cmp_ge_u64_e32 vcc, v[4:5], v[43:44]
	s_and_saveexec_b64 s[10:11], vcc
	s_cbranch_execz .LBB5_29
; %bb.31:                               ;   in Loop: Header=BB5_30 Depth=1
	v_mov_b32_e32 v7, v3
	v_mov_b32_e32 v9, v1
	;; [unrolled: 1-line block ×3, first 2 shown]
	s_mov_b64 s[12:13], 0
	v_mov_b32_e32 v6, v2
	v_mov_b32_e32 v13, v12
	;; [unrolled: 1-line block ×4, first 2 shown]
.LBB5_32:                               ;   Parent Loop BB5_30 Depth=1
                                        ; =>  This Inner Loop Header: Depth=2
	flat_load_dword v16, v[6:7]
	v_mul_lo_u32 v17, v9, v10
	v_mul_lo_u32 v18, v8, v11
	v_mad_u64_u32 v[14:15], s[16:17], v8, v10, 0
	v_add_co_u32_e32 v10, vcc, s53, v10
	v_addc_co_u32_e32 v11, vcc, 0, v11, vcc
	v_subrev_co_u32_e32 v8, vcc, s53, v8
	v_subbrev_co_u32_e32 v9, vcc, 0, v9, vcc
	v_add3_u32 v15, v15, v18, v17
	v_add_co_u32_e32 v6, vcc, s14, v6
	v_lshrrev_b32_e32 v15, 31, v15
	v_addc_co_u32_e32 v7, vcc, 0, v7, vcc
	v_add_u32_e32 v14, v14, v15
	v_cmp_gt_u64_e32 vcc, v[10:11], v[4:5]
	v_lshrrev_b32_e32 v14, 1, v14
	v_add_u32_e32 v14, v13, v14
	s_or_b64 s[12:13], vcc, s[12:13]
	v_subrev_u32_e32 v13, s53, v13
	v_lshl_add_u32 v14, v14, 2, 0
	s_waitcnt vmcnt(0) lgkmcnt(0)
	ds_write_b32 v14, v16
	s_andn2_b64 exec, exec, s[12:13]
	s_cbranch_execnz .LBB5_32
	s_branch .LBB5_29
.LBB5_33:
	s_or_b64 exec, exec, s[4:5]
	s_mov_b64 s[4:5], -1
	s_and_saveexec_b64 s[38:39], s[4:5]
	s_cbranch_execz .LBB5_87
.LBB5_34:
	v_cmp_lt_i64_e64 s[4:5], s[36:37], 1
	s_waitcnt lgkmcnt(0)
	s_and_b64 vcc, exec, s[4:5]
	s_barrier
	s_cbranch_vccnz .LBB5_59
; %bb.35:
	s_mul_i32 s30, s52, s53
	v_mul_lo_u32 v0, s30, v45
	s_add_u32 s10, s46, s48
	v_mul_u32_u24_e32 v1, s53, v41
	s_addc_u32 s11, s47, s49
	v_add3_u32 v6, v1, v43, v0
	s_lshl_b64 s[12:13], s[36:37], 1
	s_or_b32 s12, s12, 1
	v_cmp_eq_u32_e64 s[4:5], 0, v6
	v_mov_b32_e32 v7, 0
	s_lshl_b32 s31, s30, 2
	s_lshl_b32 s33, s53, 2
	v_sub_u32_e32 v8, v43, v41
	s_mov_b64 s[16:17], 0
	v_mov_b32_e32 v9, 0x180
	s_mov_b32 s46, 0xf800000
	v_mov_b32_e32 v10, 0x260
	s_mov_b64 s[14:15], 0
	s_branch .LBB5_37
.LBB5_36:                               ;   in Loop: Header=BB5_37 Depth=1
	s_andn2_b64 vcc, exec, s[8:9]
	s_cbranch_vccz .LBB5_59
.LBB5_37:                               ; =>This Loop Header: Depth=1
                                        ;     Child Loop BB5_48 Depth 2
                                        ;     Child Loop BB5_52 Depth 2
                                        ;       Child Loop BB5_55 Depth 3
	s_add_u32 s6, s16, s12
	s_addc_u32 s7, s17, s13
	s_mul_i32 s8, s6, s15
	s_mul_hi_u32 s9, s6, s14
	s_add_i32 s8, s9, s8
	s_mul_i32 s7, s7, s14
	s_add_i32 s8, s8, s7
	s_mul_i32 s6, s6, s14
	s_lshr_b32 s7, s8, 31
	s_add_u32 s6, s6, s7
	s_addc_u32 s7, s8, 0
	s_ashr_i64 s[18:19], s[6:7], 1
	s_lshl_b32 s6, s18, 2
	s_add_i32 s17, s6, 0
	v_mov_b32_e32 v0, s17
	ds_read_b32 v0, v0
	s_mov_b64 s[8:9], -1
	s_waitcnt lgkmcnt(0)
	v_cmp_class_f32_e64 s[6:7], v0, v9
	s_and_b64 vcc, exec, s[6:7]
	s_cbranch_vccz .LBB5_40
; %bb.38:                               ;   in Loop: Header=BB5_37 Depth=1
	s_andn2_b64 vcc, exec, s[8:9]
	s_cbranch_vccz .LBB5_44
.LBB5_39:                               ;   in Loop: Header=BB5_37 Depth=1
	s_mov_b64 s[8:9], -1
	s_and_b64 vcc, exec, s[6:7]
                                        ; implicit-def: $sgpr16_sgpr17
	s_cbranch_vccz .LBB5_36
	s_branch .LBB5_58
.LBB5_40:                               ;   in Loop: Header=BB5_37 Depth=1
	s_and_saveexec_b64 s[8:9], s[4:5]
	s_cbranch_execz .LBB5_43
; %bb.41:                               ;   in Loop: Header=BB5_37 Depth=1
	global_load_dwordx2 v[1:2], v7, s[10:11]
	s_waitcnt vmcnt(0)
	v_cmp_ne_u64_e32 vcc, 0, v[1:2]
	s_cbranch_vccnz .LBB5_43
; %bb.42:                               ;   in Loop: Header=BB5_37 Depth=1
	s_add_u32 s20, s14, 1
	s_addc_u32 s21, s15, 0
	v_mov_b32_e32 v1, s20
	v_mov_b32_e32 v2, s21
	global_store_dwordx2 v7, v[1:2], s[10:11]
.LBB5_43:                               ;   in Loop: Header=BB5_37 Depth=1
	s_or_b64 exec, exec, s[8:9]
	s_cbranch_execnz .LBB5_39
.LBB5_44:                               ;   in Loop: Header=BB5_37 Depth=1
	v_mul_f32_e32 v1, 0x4f800000, v0
	v_cmp_gt_f32_e32 vcc, s46, v0
	v_cndmask_b32_e32 v0, v0, v1, vcc
	v_sqrt_f32_e32 v1, v0
	v_add_u32_e32 v2, -1, v1
	v_fma_f32 v4, -v2, v1, v0
	v_add_u32_e32 v3, 1, v1
	v_cmp_ge_f32_e64 s[8:9], 0, v4
	v_cndmask_b32_e64 v2, v1, v2, s[8:9]
	v_fma_f32 v1, -v3, v1, v0
	v_cmp_lt_f32_e64 s[8:9], 0, v1
	v_cndmask_b32_e64 v1, v2, v3, s[8:9]
	v_mul_f32_e32 v2, 0x37800000, v1
	v_cndmask_b32_e32 v1, v1, v2, vcc
	v_cmp_class_f32_e32 vcc, v0, v10
	v_cndmask_b32_e32 v2, v1, v0, vcc
	s_and_saveexec_b64 s[8:9], s[4:5]
; %bb.45:                               ;   in Loop: Header=BB5_37 Depth=1
	v_mov_b32_e32 v0, s17
	ds_write_b32 v0, v2
; %bb.46:                               ;   in Loop: Header=BB5_37 Depth=1
	s_or_b64 exec, exec, s[8:9]
	s_add_u32 s17, s14, 1
	s_addc_u32 s19, s15, 0
	v_mov_b32_e32 v1, s19
	v_add_co_u32_e32 v0, vcc, s17, v6
	v_addc_co_u32_e32 v1, vcc, 0, v1, vcc
	v_cmp_gt_i64_e32 vcc, s[36:37], v[0:1]
	s_waitcnt vmcnt(0) lgkmcnt(0)
	s_barrier
	s_and_saveexec_b64 s[8:9], vcc
	s_cbranch_execz .LBB5_49
; %bb.47:                               ;   in Loop: Header=BB5_37 Depth=1
	v_add_lshl_u32 v3, v6, s18, 2
	v_add3_u32 v3, 0, 4, v3
	s_mov_b64 s[20:21], 0
.LBB5_48:                               ;   Parent Loop BB5_37 Depth=1
                                        ; =>  This Inner Loop Header: Depth=2
	ds_read_b32 v4, v3
	s_waitcnt lgkmcnt(0)
	v_div_scale_f32 v5, s[22:23], v2, v2, v4
	v_div_scale_f32 v11, vcc, v4, v2, v4
	v_rcp_f32_e32 v12, v5
	v_fma_f32 v13, -v5, v12, 1.0
	v_fmac_f32_e32 v12, v13, v12
	v_mul_f32_e32 v13, v11, v12
	v_fma_f32 v14, -v5, v13, v11
	v_fmac_f32_e32 v13, v14, v12
	v_fma_f32 v5, -v5, v13, v11
	v_div_fmas_f32 v5, v5, v12, v13
	v_add_co_u32_e32 v0, vcc, s30, v0
	v_addc_co_u32_e32 v1, vcc, 0, v1, vcc
	v_cmp_le_i64_e32 vcc, s[36:37], v[0:1]
	s_or_b64 s[20:21], vcc, s[20:21]
	v_div_fixup_f32 v4, v5, v2, v4
	ds_write_b32 v3, v4
	v_add_u32_e32 v3, s31, v3
	s_andn2_b64 exec, exec, s[20:21]
	s_cbranch_execnz .LBB5_48
.LBB5_49:                               ;   in Loop: Header=BB5_37 Depth=1
	s_or_b64 exec, exec, s[8:9]
	v_mov_b32_e32 v1, s19
	v_add_co_u32_e32 v0, vcc, s17, v41
	v_addc_co_u32_e32 v1, vcc, 0, v1, vcc
	v_cmp_gt_i64_e32 vcc, s[36:37], v[0:1]
	s_waitcnt lgkmcnt(0)
	s_barrier
	s_and_saveexec_b64 s[20:21], vcc
	s_cbranch_execz .LBB5_57
; %bb.50:                               ;   in Loop: Header=BB5_37 Depth=1
	v_mov_b32_e32 v3, s19
	v_add_co_u32_e32 v2, vcc, s17, v43
	v_addc_co_u32_e32 v3, vcc, 0, v3, vcc
	v_cmp_gt_i64_e32 vcc, s[36:37], v[2:3]
	s_add_u32 s47, s18, s16
	v_add_lshl_u32 v11, v43, s18, 2
	s_mov_b64 s[16:17], 0
	v_mov_b32_e32 v12, v8
	s_branch .LBB5_52
.LBB5_51:                               ;   in Loop: Header=BB5_52 Depth=2
	s_or_b64 exec, exec, s[18:19]
	v_add_co_u32_e64 v0, s[8:9], s52, v0
	v_addc_co_u32_e64 v1, s[8:9], 0, v1, s[8:9]
	v_cmp_le_i64_e64 s[8:9], s[36:37], v[0:1]
	v_subrev_u32_e32 v12, s52, v12
	s_or_b64 s[16:17], s[8:9], s[16:17]
	s_andn2_b64 exec, exec, s[16:17]
	s_cbranch_execz .LBB5_57
.LBB5_52:                               ;   Parent Loop BB5_37 Depth=1
                                        ; =>  This Loop Header: Depth=2
                                        ;       Child Loop BB5_55 Depth 3
	s_and_saveexec_b64 s[18:19], vcc
	s_cbranch_execz .LBB5_51
; %bb.53:                               ;   in Loop: Header=BB5_52 Depth=2
	v_mov_b32_e32 v4, s13
	v_sub_co_u32_e64 v5, s[8:9], s12, v0
	v_subb_co_u32_e64 v4, s[8:9], v4, v1, s[8:9]
	v_mul_lo_u32 v14, v4, v0
	v_mul_lo_u32 v15, v5, v1
	v_mad_u64_u32 v[4:5], s[8:9], v5, v0, 0
	s_waitcnt lgkmcnt(0)
	v_add_u32_e32 v13, s47, v0
	v_lshl_add_u32 v13, v13, 2, 0
	v_add3_u32 v5, v5, v15, v14
	ds_read_b32 v13, v13
	v_lshrrev_b32_e32 v5, 31, v5
	v_add_u32_e32 v4, v4, v5
	v_lshrrev_b32_e32 v4, 1, v4
	v_add_lshl_u32 v14, v12, v4, 2
	v_mov_b32_e32 v5, v3
	s_mov_b32 s48, 0
	s_mov_b64 s[22:23], 0
	v_mov_b32_e32 v4, v2
	s_branch .LBB5_55
.LBB5_54:                               ;   in Loop: Header=BB5_55 Depth=3
	s_or_b64 exec, exec, s[24:25]
	v_add_co_u32_e64 v4, s[8:9], s53, v4
	v_addc_co_u32_e64 v5, s[8:9], 0, v5, s[8:9]
	v_cmp_le_i64_e64 s[8:9], s[36:37], v[4:5]
	s_add_i32 s48, s48, s33
	s_or_b64 s[22:23], s[8:9], s[22:23]
	s_andn2_b64 exec, exec, s[22:23]
	s_cbranch_execz .LBB5_51
.LBB5_55:                               ;   Parent Loop BB5_37 Depth=1
                                        ;     Parent Loop BB5_52 Depth=2
                                        ; =>    This Inner Loop Header: Depth=3
	v_cmp_ge_u64_e64 s[8:9], v[4:5], v[0:1]
	s_and_saveexec_b64 s[24:25], s[8:9]
	s_cbranch_execz .LBB5_54
; %bb.56:                               ;   in Loop: Header=BB5_55 Depth=3
	v_add_u32_e32 v15, s48, v11
	v_add_u32_e32 v16, s48, v14
	ds_read_b32 v15, v15 offset:4
	ds_read_b32 v17, v16
	s_waitcnt lgkmcnt(0)
	v_fma_f32 v15, -v13, v15, v17
	ds_write_b32 v16, v15
	s_branch .LBB5_54
.LBB5_57:                               ;   in Loop: Header=BB5_37 Depth=1
	s_or_b64 exec, exec, s[20:21]
	s_waitcnt lgkmcnt(0)
	s_barrier
	s_mov_b64 s[8:9], -1
	s_and_b64 vcc, exec, s[6:7]
                                        ; implicit-def: $sgpr16_sgpr17
	s_cbranch_vccz .LBB5_36
.LBB5_58:                               ;   in Loop: Header=BB5_37 Depth=1
	s_add_u32 s6, s14, 1
	s_addc_u32 s7, s15, 0
	s_not_b64 s[16:17], s[14:15]
	s_cmp_eq_u64 s[6:7], s[36:37]
	s_cselect_b64 s[8:9], -1, 0
	s_mov_b64 s[14:15], s[6:7]
	s_branch .LBB5_36
.LBB5_59:
	s_andn2_b64 vcc, exec, s[44:45]
	s_waitcnt vmcnt(0)
	s_barrier
	s_cbranch_vccnz .LBB5_71
; %bb.60:
	s_mov_b64 s[6:7], -1
	s_mov_b64 s[4:5], s[34:35]
	s_and_saveexec_b64 s[44:45], s[28:29]
	s_cbranch_execz .LBB5_75
; %bb.61:
	v_mad_u64_u32 v[2:3], s[4:5], s42, v41, 0
	v_mov_b32_e32 v1, 0
	s_lshl_b64 s[6:7], s[36:37], 1
	v_mov_b32_e32 v0, v3
	v_mad_u64_u32 v[3:4], s[4:5], s43, v41, v[0:1]
	s_lshl_b64 s[4:5], s[40:41], 2
	v_mov_b32_e32 v4, s5
	v_lshlrev_b64 v[2:3], 2, v[2:3]
	s_or_b32 s6, s6, 1
	v_add_co_u32_e32 v2, vcc, s4, v2
	v_addc_co_u32_e32 v3, vcc, v3, v4, vcc
	v_add_lshl_u32 v4, v41, v43, 2
	s_lshl_b64 s[4:5], s[42:43], 2
	v_add_co_u32_e32 v2, vcc, v2, v4
	s_add_u32 s4, s4, 4
	v_addc_co_u32_e32 v3, vcc, 0, v3, vcc
	s_addc_u32 s5, s5, 0
	v_add_co_u32_e32 v2, vcc, v46, v2
	s_mul_i32 s5, s5, s52
	s_mul_hi_u32 s8, s4, s52
	v_mov_b32_e32 v4, v41
	v_add_u32_e32 v0, v41, v43
	v_addc_co_u32_e32 v3, vcc, v47, v3, vcc
	s_add_i32 s30, s8, s5
	s_mul_i32 s31, s4, s52
	s_lshl_b32 s33, s53, 2
	s_mov_b64 s[10:11], 0
	v_mov_b32_e32 v5, v42
                                        ; implicit-def: $sgpr8_sgpr9
                                        ; implicit-def: $sgpr12_sgpr13
	s_branch .LBB5_63
.LBB5_62:                               ;   in Loop: Header=BB5_63 Depth=1
	s_or_b64 exec, exec, s[4:5]
	s_and_b64 s[4:5], exec, s[14:15]
	s_or_b64 s[10:11], s[4:5], s[10:11]
	s_andn2_b64 s[4:5], s[8:9], exec
	s_and_b64 s[8:9], s[12:13], exec
	s_or_b64 s[8:9], s[4:5], s[8:9]
	s_andn2_b64 exec, exec, s[10:11]
	s_cbranch_execz .LBB5_72
.LBB5_63:                               ; =>This Loop Header: Depth=1
                                        ;     Child Loop BB5_66 Depth 2
	v_add_co_u32_e32 v6, vcc, v4, v43
	v_addc_co_u32_e32 v7, vcc, 0, v5, vcc
	v_cmp_gt_i64_e32 vcc, s[36:37], v[6:7]
	s_mov_b64 s[16:17], -1
	s_and_saveexec_b64 s[14:15], vcc
	s_cbranch_execz .LBB5_69
; %bb.64:                               ;   in Loop: Header=BB5_63 Depth=1
	v_mov_b32_e32 v8, s7
	v_sub_co_u32_e32 v9, vcc, s6, v4
	v_subb_co_u32_e32 v8, vcc, v8, v5, vcc
	v_mul_lo_u32 v10, v8, v4
	v_mul_lo_u32 v11, v9, v5
	v_mad_u64_u32 v[8:9], s[4:5], v9, v4, 0
	v_cmp_ge_u64_e32 vcc, v[0:1], v[4:5]
	s_mov_b64 s[16:17], 0
	v_add3_u32 v9, v9, v11, v10
	v_lshrrev_b32_e32 v9, 31, v9
	v_add_u32_e32 v8, v8, v9
	v_lshrrev_b32_e32 v8, 1, v8
	v_add_u32_e32 v8, v43, v8
	v_lshl_add_u32 v10, v8, 2, 0
	v_mov_b32_e32 v9, v3
	v_mov_b32_e32 v8, v2
                                        ; implicit-def: $sgpr18_sgpr19
                                        ; implicit-def: $sgpr22_sgpr23
                                        ; implicit-def: $sgpr20_sgpr21
	s_branch .LBB5_66
.LBB5_65:                               ;   in Loop: Header=BB5_66 Depth=2
	s_or_b64 exec, exec, s[24:25]
	s_xor_b64 s[4:5], s[20:21], -1
	s_and_b64 s[24:25], exec, s[22:23]
	s_or_b64 s[16:17], s[24:25], s[16:17]
	s_andn2_b64 s[18:19], s[18:19], exec
	s_and_b64 s[4:5], s[4:5], exec
	s_or_b64 s[18:19], s[18:19], s[4:5]
	s_andn2_b64 exec, exec, s[16:17]
	s_cbranch_execz .LBB5_68
.LBB5_66:                               ;   Parent Loop BB5_63 Depth=1
                                        ; =>  This Inner Loop Header: Depth=2
	s_or_b64 s[20:21], s[20:21], exec
	s_or_b64 s[22:23], s[22:23], exec
	s_and_saveexec_b64 s[24:25], vcc
	s_cbranch_execz .LBB5_65
; %bb.67:                               ;   in Loop: Header=BB5_66 Depth=2
	ds_read_b32 v11, v10
	v_add_co_u32_e64 v6, s[4:5], s53, v6
	v_addc_co_u32_e64 v7, s[4:5], 0, v7, s[4:5]
	s_waitcnt lgkmcnt(0)
	flat_store_dword v[8:9], v11
	v_add_co_u32_e64 v8, s[4:5], s33, v8
	v_addc_co_u32_e64 v9, s[4:5], 0, v9, s[4:5]
	v_cmp_le_i64_e64 s[4:5], s[36:37], v[6:7]
	s_andn2_b64 s[22:23], s[22:23], exec
	s_and_b64 s[4:5], s[4:5], exec
	v_add_u32_e32 v10, s33, v10
	s_andn2_b64 s[20:21], s[20:21], exec
	s_or_b64 s[22:23], s[22:23], s[4:5]
	s_branch .LBB5_65
.LBB5_68:                               ;   in Loop: Header=BB5_63 Depth=1
	s_or_b64 exec, exec, s[16:17]
	s_orn2_b64 s[16:17], s[18:19], exec
.LBB5_69:                               ;   in Loop: Header=BB5_63 Depth=1
	s_or_b64 exec, exec, s[14:15]
	s_mov_b64 s[14:15], -1
	s_or_b64 s[12:13], s[12:13], exec
	s_and_saveexec_b64 s[4:5], s[16:17]
	s_cbranch_execz .LBB5_62
; %bb.70:                               ;   in Loop: Header=BB5_63 Depth=1
	v_add_co_u32_e32 v4, vcc, s52, v4
	v_addc_co_u32_e32 v5, vcc, 0, v5, vcc
	v_add_co_u32_e32 v0, vcc, s52, v0
	v_addc_co_u32_e32 v1, vcc, 0, v1, vcc
	v_mov_b32_e32 v6, s30
	v_add_co_u32_e32 v2, vcc, s31, v2
	v_addc_co_u32_e32 v3, vcc, v3, v6, vcc
	v_cmp_le_i64_e32 vcc, s[36:37], v[4:5]
	s_andn2_b64 s[12:13], s[12:13], exec
	s_orn2_b64 s[14:15], vcc, exec
	s_branch .LBB5_62
.LBB5_71:
	s_mov_b64 s[8:9], -1
	s_mov_b64 s[6:7], 0
	s_mov_b64 s[4:5], s[34:35]
	s_branch .LBB5_76
.LBB5_72:
	s_or_b64 exec, exec, s[10:11]
	s_mov_b64 s[6:7], -1
	s_mov_b64 s[4:5], s[34:35]
	s_and_saveexec_b64 s[10:11], s[8:9]
	s_xor_b64 s[46:47], exec, s[10:11]
	s_cbranch_execz .LBB5_74
; %bb.73:
	s_add_u32 s8, s26, 56
	s_addc_u32 s9, s27, 0
	s_getpc_b64 s[4:5]
	s_add_u32 s4, s4, .str.10@rel32@lo+4
	s_addc_u32 s5, s5, .str.10@rel32@hi+12
	s_getpc_b64 s[6:7]
	s_add_u32 s6, s6, __PRETTY_FUNCTION__._ZN9rocsolver6v33100L9idx_lowerIlEET_S2_S2_S2_@rel32@lo+4
	s_addc_u32 s7, s7, __PRETTY_FUNCTION__._ZN9rocsolver6v33100L9idx_lowerIlEET_S2_S2_S2_@rel32@hi+12
	s_getpc_b64 s[10:11]
	s_add_u32 s10, s10, __assert_fail@rel32@lo+4
	s_addc_u32 s11, s11, __assert_fail@rel32@hi+12
	v_mov_b32_e32 v0, s4
	v_mov_b32_e32 v1, s5
	;; [unrolled: 1-line block ×5, first 2 shown]
	s_swappc_b64 s[30:31], s[10:11]
	s_or_b64 s[4:5], s[34:35], exec
	s_xor_b64 s[6:7], exec, -1
.LBB5_74:
	s_or_b64 exec, exec, s[46:47]
	s_andn2_b64 s[8:9], s[34:35], exec
	s_and_b64 s[4:5], s[4:5], exec
	s_or_b64 s[4:5], s[8:9], s[4:5]
	s_orn2_b64 s[6:7], s[6:7], exec
.LBB5_75:
	s_or_b64 exec, exec, s[44:45]
	s_mov_b64 s[8:9], 0
.LBB5_76:
	s_and_b64 vcc, exec, s[8:9]
	s_cbranch_vccz .LBB5_84
; %bb.77:
	s_and_saveexec_b64 s[6:7], s[28:29]
	s_cbranch_execz .LBB5_83
; %bb.78:
	v_mad_u64_u32 v[2:3], s[10:11], s42, v41, 0
	s_lshl_b64 s[8:9], s[36:37], 1
	v_mov_b32_e32 v0, s9
	v_sub_co_u32_e32 v1, vcc, s8, v43
	v_subbrev_co_u32_e32 v5, vcc, 0, v0, vcc
	v_mov_b32_e32 v0, v3
	v_mad_u64_u32 v[3:4], s[8:9], s43, v41, v[0:1]
	v_add_co_u32_e32 v0, vcc, 1, v1
	v_lshlrev_b64 v[2:3], 2, v[2:3]
	v_addc_co_u32_e32 v1, vcc, 0, v5, vcc
	s_lshl_b64 s[8:9], s[40:41], 2
	v_mov_b32_e32 v4, s9
	v_add_co_u32_e32 v2, vcc, s8, v2
	v_addc_co_u32_e32 v3, vcc, v3, v4, vcc
	v_lshlrev_b32_e32 v4, 2, v43
	v_add_co_u32_e32 v2, vcc, v2, v4
	v_addc_co_u32_e32 v3, vcc, 0, v3, vcc
	s_mul_i32 s8, s43, s52
	s_mul_hi_u32 s9, s42, s52
	v_add_co_u32_e32 v2, vcc, v46, v2
	s_add_i32 s9, s9, s8
	s_mul_i32 s8, s42, s52
	v_mov_b32_e32 v44, 0
	v_sub_u32_e32 v10, v41, v43
	v_addc_co_u32_e32 v3, vcc, v47, v3, vcc
	s_lshl_b64 s[8:9], s[8:9], 2
	s_lshl_b32 s16, s53, 2
	s_mov_b64 s[10:11], 0
	s_branch .LBB5_80
.LBB5_79:                               ;   in Loop: Header=BB5_80 Depth=1
	s_or_b64 exec, exec, s[12:13]
	v_add_co_u32_e32 v41, vcc, s52, v41
	v_addc_co_u32_e32 v42, vcc, 0, v42, vcc
	v_cmp_le_i64_e32 vcc, s[36:37], v[41:42]
	v_mov_b32_e32 v4, s9
	s_or_b64 s[10:11], vcc, s[10:11]
	v_add_co_u32_e32 v2, vcc, s8, v2
	v_add_u32_e32 v10, s52, v10
	v_addc_co_u32_e32 v3, vcc, v3, v4, vcc
	s_andn2_b64 exec, exec, s[10:11]
	s_cbranch_execz .LBB5_83
.LBB5_80:                               ; =>This Loop Header: Depth=1
                                        ;     Child Loop BB5_82 Depth 2
	v_cmp_ge_u64_e32 vcc, v[41:42], v[43:44]
	s_and_saveexec_b64 s[12:13], vcc
	s_cbranch_execz .LBB5_79
; %bb.81:                               ;   in Loop: Header=BB5_80 Depth=1
	v_mov_b32_e32 v5, v3
	v_mov_b32_e32 v7, v1
	;; [unrolled: 1-line block ×3, first 2 shown]
	s_mov_b64 s[14:15], 0
	v_mov_b32_e32 v4, v2
	v_mov_b32_e32 v11, v10
	;; [unrolled: 1-line block ×4, first 2 shown]
.LBB5_82:                               ;   Parent Loop BB5_80 Depth=1
                                        ; =>  This Inner Loop Header: Depth=2
	v_mul_lo_u32 v14, v7, v8
	v_mul_lo_u32 v15, v6, v9
	v_mad_u64_u32 v[12:13], s[18:19], v6, v8, 0
	v_add_co_u32_e32 v8, vcc, s53, v8
	v_add3_u32 v13, v13, v15, v14
	v_lshrrev_b32_e32 v13, 31, v13
	v_add_u32_e32 v12, v12, v13
	v_lshrrev_b32_e32 v12, 1, v12
	v_add_u32_e32 v12, v11, v12
	v_lshl_add_u32 v12, v12, 2, 0
	v_addc_co_u32_e32 v9, vcc, 0, v9, vcc
	ds_read_b32 v12, v12
	v_subrev_co_u32_e32 v6, vcc, s53, v6
	v_subbrev_co_u32_e32 v7, vcc, 0, v7, vcc
	v_cmp_gt_u64_e32 vcc, v[8:9], v[41:42]
	s_waitcnt lgkmcnt(0)
	flat_store_dword v[4:5], v12
	s_or_b64 s[14:15], vcc, s[14:15]
	v_add_co_u32_e32 v4, vcc, s16, v4
	v_subrev_u32_e32 v11, s53, v11
	v_addc_co_u32_e32 v5, vcc, 0, v5, vcc
	s_andn2_b64 exec, exec, s[14:15]
	s_cbranch_execnz .LBB5_82
	s_branch .LBB5_79
.LBB5_83:
	s_or_b64 exec, exec, s[6:7]
	s_mov_b64 s[6:7], -1
.LBB5_84:
	s_and_saveexec_b64 s[8:9], s[6:7]
	s_xor_b64 s[6:7], exec, s[8:9]
	s_cbranch_execz .LBB5_86
; %bb.85:
	s_waitcnt vmcnt(0) lgkmcnt(0)
	s_barrier
.LBB5_86:
	s_or_b64 exec, exec, s[6:7]
	s_andn2_b64 s[6:7], s[34:35], exec
	s_and_b64 s[4:5], s[4:5], exec
	s_or_b64 s[34:35], s[6:7], s[4:5]
.LBB5_87:
	s_or_b64 exec, exec, s[38:39]
	s_branch .LBB5_89
.LBB5_88:
	s_add_u32 s8, s26, 56
	s_addc_u32 s9, s27, 0
	s_getpc_b64 s[4:5]
	s_add_u32 s4, s4, .str.4@rel32@lo+4
	s_addc_u32 s5, s5, .str.4@rel32@hi+12
	s_getpc_b64 s[6:7]
	s_add_u32 s6, s6, __PRETTY_FUNCTION__._ZN9rocsolver6v33100L18potf2_kernel_smallIfllPKPfEEvbT0_T2_lS5_lPT1_@rel32@lo+4
	s_addc_u32 s7, s7, __PRETTY_FUNCTION__._ZN9rocsolver6v33100L18potf2_kernel_smallIfllPKPfEEvbT0_T2_lS5_lPT1_@rel32@hi+12
	s_getpc_b64 s[10:11]
	s_add_u32 s10, s10, __assert_fail@rel32@lo+4
	s_addc_u32 s11, s11, __assert_fail@rel32@hi+12
	v_mov_b32_e32 v0, s4
	v_mov_b32_e32 v1, s5
	;; [unrolled: 1-line block ×5, first 2 shown]
	s_swappc_b64 s[30:31], s[10:11]
	s_or_b64 s[34:35], s[34:35], exec
.LBB5_89:
	s_branch .LBB5_91
.LBB5_90:
	s_add_u32 s8, s26, 56
	s_addc_u32 s9, s27, 0
	s_getpc_b64 s[4:5]
	s_add_u32 s4, s4, .str.3@rel32@lo+4
	s_addc_u32 s5, s5, .str.3@rel32@hi+12
	s_getpc_b64 s[6:7]
	s_add_u32 s6, s6, __PRETTY_FUNCTION__._ZN9rocsolver6v33100L18potf2_kernel_smallIfllPKPfEEvbT0_T2_lS5_lPT1_@rel32@lo+4
	s_addc_u32 s7, s7, __PRETTY_FUNCTION__._ZN9rocsolver6v33100L18potf2_kernel_smallIfllPKPfEEvbT0_T2_lS5_lPT1_@rel32@hi+12
	s_getpc_b64 s[10:11]
	s_add_u32 s10, s10, __assert_fail@rel32@lo+4
	s_addc_u32 s11, s11, __assert_fail@rel32@hi+12
	v_mov_b32_e32 v0, s4
	v_mov_b32_e32 v1, s5
	;; [unrolled: 1-line block ×5, first 2 shown]
	s_swappc_b64 s[30:31], s[10:11]
	s_or_b64 s[34:35], s[34:35], exec
.LBB5_91:
	s_branch .LBB5_93
.LBB5_92:
	s_add_u32 s8, s26, 56
	s_addc_u32 s9, s27, 0
	s_getpc_b64 s[4:5]
	s_add_u32 s4, s4, .str.2@rel32@lo+4
	s_addc_u32 s5, s5, .str.2@rel32@hi+12
	s_getpc_b64 s[6:7]
	s_add_u32 s6, s6, __PRETTY_FUNCTION__._ZN9rocsolver6v33100L18potf2_kernel_smallIfllPKPfEEvbT0_T2_lS5_lPT1_@rel32@lo+4
	s_addc_u32 s7, s7, __PRETTY_FUNCTION__._ZN9rocsolver6v33100L18potf2_kernel_smallIfllPKPfEEvbT0_T2_lS5_lPT1_@rel32@hi+12
	s_getpc_b64 s[10:11]
	s_add_u32 s10, s10, __assert_fail@rel32@lo+4
	s_addc_u32 s11, s11, __assert_fail@rel32@hi+12
	v_mov_b32_e32 v0, s4
	v_mov_b32_e32 v1, s5
	v_mov_b32_e32 v2, 0x12b
	v_mov_b32_e32 v3, s6
	v_mov_b32_e32 v4, s7
	s_swappc_b64 s[30:31], s[10:11]
	s_or_b64 s[34:35], s[34:35], exec
.LBB5_93:
	s_and_saveexec_b64 s[4:5], s[34:35]
; %bb.94:
	; divergent unreachable
; %bb.95:
	s_endpgm
	.section	.rodata,"a",@progbits
	.p2align	6, 0x0
	.amdhsa_kernel _ZN9rocsolver6v33100L18potf2_kernel_smallIfllPKPfEEvbT0_T2_lS5_lPT1_
		.amdhsa_group_segment_fixed_size 0
		.amdhsa_private_segment_fixed_size 64
		.amdhsa_kernarg_size 312
		.amdhsa_user_sgpr_count 8
		.amdhsa_user_sgpr_private_segment_buffer 1
		.amdhsa_user_sgpr_dispatch_ptr 0
		.amdhsa_user_sgpr_queue_ptr 0
		.amdhsa_user_sgpr_kernarg_segment_ptr 1
		.amdhsa_user_sgpr_dispatch_id 0
		.amdhsa_user_sgpr_flat_scratch_init 1
		.amdhsa_user_sgpr_private_segment_size 0
		.amdhsa_uses_dynamic_stack 0
		.amdhsa_system_sgpr_private_segment_wavefront_offset 1
		.amdhsa_system_sgpr_workgroup_id_x 1
		.amdhsa_system_sgpr_workgroup_id_y 0
		.amdhsa_system_sgpr_workgroup_id_z 1
		.amdhsa_system_sgpr_workgroup_info 0
		.amdhsa_system_vgpr_workitem_id 2
		.amdhsa_next_free_vgpr 51
		.amdhsa_next_free_sgpr 54
		.amdhsa_reserve_vcc 1
		.amdhsa_reserve_flat_scratch 1
		.amdhsa_float_round_mode_32 0
		.amdhsa_float_round_mode_16_64 0
		.amdhsa_float_denorm_mode_32 3
		.amdhsa_float_denorm_mode_16_64 3
		.amdhsa_dx10_clamp 1
		.amdhsa_ieee_mode 1
		.amdhsa_fp16_overflow 0
		.amdhsa_exception_fp_ieee_invalid_op 0
		.amdhsa_exception_fp_denorm_src 0
		.amdhsa_exception_fp_ieee_div_zero 0
		.amdhsa_exception_fp_ieee_overflow 0
		.amdhsa_exception_fp_ieee_underflow 0
		.amdhsa_exception_fp_ieee_inexact 0
		.amdhsa_exception_int_div_zero 0
	.end_amdhsa_kernel
	.section	.text._ZN9rocsolver6v33100L18potf2_kernel_smallIfllPKPfEEvbT0_T2_lS5_lPT1_,"axG",@progbits,_ZN9rocsolver6v33100L18potf2_kernel_smallIfllPKPfEEvbT0_T2_lS5_lPT1_,comdat
.Lfunc_end5:
	.size	_ZN9rocsolver6v33100L18potf2_kernel_smallIfllPKPfEEvbT0_T2_lS5_lPT1_, .Lfunc_end5-_ZN9rocsolver6v33100L18potf2_kernel_smallIfllPKPfEEvbT0_T2_lS5_lPT1_
                                        ; -- End function
	.set _ZN9rocsolver6v33100L18potf2_kernel_smallIfllPKPfEEvbT0_T2_lS5_lPT1_.num_vgpr, max(48, .L__assert_fail.num_vgpr)
	.set _ZN9rocsolver6v33100L18potf2_kernel_smallIfllPKPfEEvbT0_T2_lS5_lPT1_.num_agpr, max(0, .L__assert_fail.num_agpr)
	.set _ZN9rocsolver6v33100L18potf2_kernel_smallIfllPKPfEEvbT0_T2_lS5_lPT1_.numbered_sgpr, max(54, .L__assert_fail.numbered_sgpr)
	.set _ZN9rocsolver6v33100L18potf2_kernel_smallIfllPKPfEEvbT0_T2_lS5_lPT1_.num_named_barrier, max(0, .L__assert_fail.num_named_barrier)
	.set _ZN9rocsolver6v33100L18potf2_kernel_smallIfllPKPfEEvbT0_T2_lS5_lPT1_.private_seg_size, 0+max(.L__assert_fail.private_seg_size)
	.set _ZN9rocsolver6v33100L18potf2_kernel_smallIfllPKPfEEvbT0_T2_lS5_lPT1_.uses_vcc, or(1, .L__assert_fail.uses_vcc)
	.set _ZN9rocsolver6v33100L18potf2_kernel_smallIfllPKPfEEvbT0_T2_lS5_lPT1_.uses_flat_scratch, or(1, .L__assert_fail.uses_flat_scratch)
	.set _ZN9rocsolver6v33100L18potf2_kernel_smallIfllPKPfEEvbT0_T2_lS5_lPT1_.has_dyn_sized_stack, or(0, .L__assert_fail.has_dyn_sized_stack)
	.set _ZN9rocsolver6v33100L18potf2_kernel_smallIfllPKPfEEvbT0_T2_lS5_lPT1_.has_recursion, or(0, .L__assert_fail.has_recursion)
	.set _ZN9rocsolver6v33100L18potf2_kernel_smallIfllPKPfEEvbT0_T2_lS5_lPT1_.has_indirect_call, or(0, .L__assert_fail.has_indirect_call)
	.section	.AMDGPU.csdata,"",@progbits
; Kernel info:
; codeLenInByte = 3812
; TotalNumSgprs: 60
; NumVgprs: 51
; ScratchSize: 64
; MemoryBound: 1
; FloatMode: 240
; IeeeMode: 1
; LDSByteSize: 0 bytes/workgroup (compile time only)
; SGPRBlocks: 7
; VGPRBlocks: 12
; NumSGPRsForWavesPerEU: 60
; NumVGPRsForWavesPerEU: 51
; Occupancy: 4
; WaveLimiterHint : 1
; COMPUTE_PGM_RSRC2:SCRATCH_EN: 1
; COMPUTE_PGM_RSRC2:USER_SGPR: 8
; COMPUTE_PGM_RSRC2:TRAP_HANDLER: 0
; COMPUTE_PGM_RSRC2:TGID_X_EN: 1
; COMPUTE_PGM_RSRC2:TGID_Y_EN: 0
; COMPUTE_PGM_RSRC2:TGID_Z_EN: 1
; COMPUTE_PGM_RSRC2:TIDIG_COMP_CNT: 2
	.section	.text._ZN9rocsolver6v33100L18potf2_kernel_smallIfliPfEEvbT0_T2_lS3_lPT1_,"axG",@progbits,_ZN9rocsolver6v33100L18potf2_kernel_smallIfliPfEEvbT0_T2_lS3_lPT1_,comdat
	.globl	_ZN9rocsolver6v33100L18potf2_kernel_smallIfliPfEEvbT0_T2_lS3_lPT1_ ; -- Begin function _ZN9rocsolver6v33100L18potf2_kernel_smallIfliPfEEvbT0_T2_lS3_lPT1_
	.p2align	8
	.type	_ZN9rocsolver6v33100L18potf2_kernel_smallIfliPfEEvbT0_T2_lS3_lPT1_,@function
_ZN9rocsolver6v33100L18potf2_kernel_smallIfliPfEEvbT0_T2_lS3_lPT1_: ; @_ZN9rocsolver6v33100L18potf2_kernel_smallIfliPfEEvbT0_T2_lS3_lPT1_
; %bb.0:
	s_load_dwordx2 s[28:29], s[4:5], 0x44
	s_add_u32 flat_scratch_lo, s6, s10
	s_addc_u32 flat_scratch_hi, s7, 0
	s_add_u32 s0, s0, s10
	s_addc_u32 s1, s1, 0
	s_mov_b64 s[26:27], s[4:5]
	s_waitcnt lgkmcnt(0)
	s_and_b32 s4, s29, 0xffff
	s_mov_b32 s48, s9
	v_mov_b32_e32 v45, v2
	v_mov_b32_e32 v41, v1
	;; [unrolled: 1-line block ×3, first 2 shown]
	s_cmp_eq_u32 s4, 1
	s_mov_b32 s32, 0
	s_cbranch_scc1 .LBB6_2
; %bb.1:
	s_add_u32 s8, s26, 56
	s_addc_u32 s9, s27, 0
	s_getpc_b64 s[4:5]
	s_add_u32 s4, s4, .str@rel32@lo+4
	s_addc_u32 s5, s5, .str@rel32@hi+12
	s_getpc_b64 s[6:7]
	s_add_u32 s6, s6, __PRETTY_FUNCTION__._ZN9rocsolver6v33100L18potf2_kernel_smallIfliPfEEvbT0_T2_lS3_lPT1_@rel32@lo+4
	s_addc_u32 s7, s7, __PRETTY_FUNCTION__._ZN9rocsolver6v33100L18potf2_kernel_smallIfliPfEEvbT0_T2_lS3_lPT1_@rel32@hi+12
	s_getpc_b64 s[10:11]
	s_add_u32 s10, s10, __assert_fail@rel32@lo+4
	s_addc_u32 s11, s11, __assert_fail@rel32@hi+12
	v_mov_b32_e32 v0, s4
	v_mov_b32_e32 v1, s5
	;; [unrolled: 1-line block ×5, first 2 shown]
	s_swappc_b64 s[30:31], s[10:11]
	s_mov_b64 s[34:35], -1
	s_cbranch_execz .LBB6_3
	s_branch .LBB6_93
.LBB6_2:
	s_mov_b64 s[34:35], 0
.LBB6_3:
	s_load_dwordx8 s[36:43], s[26:27], 0x8
	s_waitcnt lgkmcnt(0)
	s_cmp_lg_u64 s[38:39], 0
	s_cbranch_scc0 .LBB6_9
; %bb.4:
	s_load_dwordx4 s[44:47], s[26:27], 0x28
	s_waitcnt lgkmcnt(0)
	s_cmp_lg_u64 s[46:47], 0
	s_cbranch_scc0 .LBB6_10
; %bb.5:
	s_cmp_lg_u64 s[38:39], 0
	s_mov_b64 s[4:5], 0
	s_cbranch_scc0 .LBB6_11
; %bb.6:
	s_load_dword s8, s[26:27], 0x0
	v_mov_b32_e32 v42, 0
	s_mov_b32 s49, 0
	s_mov_b64 s[6:7], -1
	s_waitcnt lgkmcnt(0)
	s_bitcmp1_b32 s8, 0
	s_cselect_b64 s[8:9], -1, 0
	s_lshr_b32 s56, s28, 16
	s_and_b32 s57, s28, 0xffff
	s_xor_b64 s[52:53], s[8:9], -1
	v_cmp_gt_i64_e64 s[28:29], s[36:37], v[41:42]
	s_and_b64 vcc, exec, s[52:53]
	s_barrier
	s_cbranch_vccnz .LBB6_12
; %bb.7:
	s_and_b64 vcc, exec, s[6:7]
	s_cbranch_vccnz .LBB6_27
.LBB6_8:
	s_and_saveexec_b64 s[50:51], s[4:5]
	s_cbranch_execnz .LBB6_34
	s_branch .LBB6_87
.LBB6_9:
	s_cbranch_execnz .LBB6_92
	s_branch .LBB6_93
.LBB6_10:
	s_cbranch_execnz .LBB6_90
	s_branch .LBB6_91
.LBB6_11:
	s_cbranch_execnz .LBB6_88
	s_branch .LBB6_89
.LBB6_12:
	s_mov_b64 s[4:5], -1
	s_and_saveexec_b64 s[50:51], s[28:29]
	s_cbranch_execz .LBB6_26
; %bb.13:
	v_mad_u64_u32 v[2:3], s[4:5], s42, v41, 0
	s_mul_i32 s8, s45, s48
	s_mul_hi_u32 s9, s44, s48
	v_mad_u64_u32 v[3:4], s[4:5], s43, v41, v[3:4]
	s_lshl_b64 s[6:7], s[36:37], 1
	s_add_i32 s5, s9, s8
	s_mul_i32 s4, s44, s48
	s_or_b32 s6, s6, 1
	s_lshl_b64 s[4:5], s[4:5], 2
	s_lshl_b64 s[8:9], s[40:41], 2
	v_lshlrev_b64 v[2:3], 2, v[2:3]
	s_add_u32 s4, s8, s4
	s_addc_u32 s5, s9, s5
	v_mov_b32_e32 v4, s5
	v_add_co_u32_e32 v2, vcc, s4, v2
	v_addc_co_u32_e32 v3, vcc, v4, v3, vcc
	v_add_lshl_u32 v4, v41, v43, 2
	v_add_co_u32_e32 v2, vcc, v2, v4
	s_lshl_b64 s[4:5], s[42:43], 2
	v_addc_co_u32_e32 v3, vcc, 0, v3, vcc
	s_add_u32 s4, s4, 4
	v_mov_b32_e32 v4, s39
	v_add_co_u32_e32 v2, vcc, s38, v2
	s_addc_u32 s5, s5, 0
	v_addc_co_u32_e32 v3, vcc, v4, v3, vcc
	s_mul_i32 s5, s5, s56
	s_mul_hi_u32 s8, s4, s56
	v_mov_b32_e32 v4, v41
	v_mov_b32_e32 v1, 0
	v_add_u32_e32 v0, v41, v43
	s_add_i32 s30, s8, s5
	s_mul_i32 s31, s4, s56
	s_lshl_b32 s33, s57, 2
	s_mov_b64 s[10:11], 0
	v_mov_b32_e32 v5, v42
                                        ; implicit-def: $sgpr8_sgpr9
                                        ; implicit-def: $sgpr12_sgpr13
	s_branch .LBB6_15
.LBB6_14:                               ;   in Loop: Header=BB6_15 Depth=1
	s_or_b64 exec, exec, s[4:5]
	s_and_b64 s[4:5], exec, s[14:15]
	s_or_b64 s[10:11], s[4:5], s[10:11]
	s_andn2_b64 s[4:5], s[8:9], exec
	s_and_b64 s[8:9], s[12:13], exec
	s_or_b64 s[8:9], s[4:5], s[8:9]
	s_andn2_b64 exec, exec, s[10:11]
	s_cbranch_execz .LBB6_23
.LBB6_15:                               ; =>This Loop Header: Depth=1
                                        ;     Child Loop BB6_18 Depth 2
	v_add_co_u32_e32 v6, vcc, v4, v43
	v_addc_co_u32_e32 v7, vcc, 0, v5, vcc
	v_cmp_gt_i64_e32 vcc, s[36:37], v[6:7]
	s_mov_b64 s[16:17], -1
	s_and_saveexec_b64 s[14:15], vcc
	s_cbranch_execz .LBB6_21
; %bb.16:                               ;   in Loop: Header=BB6_15 Depth=1
	v_mov_b32_e32 v8, s7
	v_sub_co_u32_e32 v9, vcc, s6, v4
	v_subb_co_u32_e32 v8, vcc, v8, v5, vcc
	v_mul_lo_u32 v10, v8, v4
	v_mul_lo_u32 v11, v9, v5
	v_mad_u64_u32 v[8:9], s[4:5], v9, v4, 0
	v_cmp_ge_u64_e32 vcc, v[0:1], v[4:5]
	s_mov_b64 s[16:17], 0
	v_add3_u32 v9, v9, v11, v10
	v_lshrrev_b32_e32 v9, 31, v9
	v_add_u32_e32 v8, v8, v9
	v_lshrrev_b32_e32 v8, 1, v8
	v_add_u32_e32 v8, v43, v8
	v_lshl_add_u32 v10, v8, 2, 0
	v_mov_b32_e32 v9, v3
	v_mov_b32_e32 v8, v2
                                        ; implicit-def: $sgpr18_sgpr19
                                        ; implicit-def: $sgpr22_sgpr23
                                        ; implicit-def: $sgpr20_sgpr21
	s_branch .LBB6_18
.LBB6_17:                               ;   in Loop: Header=BB6_18 Depth=2
	s_or_b64 exec, exec, s[24:25]
	s_xor_b64 s[4:5], s[20:21], -1
	s_and_b64 s[24:25], exec, s[22:23]
	s_or_b64 s[16:17], s[24:25], s[16:17]
	s_andn2_b64 s[18:19], s[18:19], exec
	s_and_b64 s[4:5], s[4:5], exec
	s_or_b64 s[18:19], s[18:19], s[4:5]
	s_andn2_b64 exec, exec, s[16:17]
	s_cbranch_execz .LBB6_20
.LBB6_18:                               ;   Parent Loop BB6_15 Depth=1
                                        ; =>  This Inner Loop Header: Depth=2
	s_or_b64 s[20:21], s[20:21], exec
	s_or_b64 s[22:23], s[22:23], exec
	s_and_saveexec_b64 s[24:25], vcc
	s_cbranch_execz .LBB6_17
; %bb.19:                               ;   in Loop: Header=BB6_18 Depth=2
	global_load_dword v11, v[8:9], off
	v_add_co_u32_e64 v6, s[4:5], s57, v6
	v_addc_co_u32_e64 v7, s[4:5], 0, v7, s[4:5]
	v_add_co_u32_e64 v8, s[4:5], s33, v8
	v_addc_co_u32_e64 v9, s[4:5], 0, v9, s[4:5]
	v_cmp_le_i64_e64 s[4:5], s[36:37], v[6:7]
	s_andn2_b64 s[22:23], s[22:23], exec
	s_and_b64 s[4:5], s[4:5], exec
	s_andn2_b64 s[20:21], s[20:21], exec
	s_or_b64 s[22:23], s[22:23], s[4:5]
	s_waitcnt vmcnt(0)
	ds_write_b32 v10, v11
	v_add_u32_e32 v10, s33, v10
	s_branch .LBB6_17
.LBB6_20:                               ;   in Loop: Header=BB6_15 Depth=1
	s_or_b64 exec, exec, s[16:17]
	s_orn2_b64 s[16:17], s[18:19], exec
.LBB6_21:                               ;   in Loop: Header=BB6_15 Depth=1
	s_or_b64 exec, exec, s[14:15]
	s_mov_b64 s[14:15], -1
	s_or_b64 s[12:13], s[12:13], exec
	s_and_saveexec_b64 s[4:5], s[16:17]
	s_cbranch_execz .LBB6_14
; %bb.22:                               ;   in Loop: Header=BB6_15 Depth=1
	v_add_co_u32_e32 v4, vcc, s56, v4
	v_addc_co_u32_e32 v5, vcc, 0, v5, vcc
	v_add_co_u32_e32 v0, vcc, s56, v0
	v_addc_co_u32_e32 v1, vcc, 0, v1, vcc
	v_mov_b32_e32 v6, s30
	v_add_co_u32_e32 v2, vcc, s31, v2
	v_addc_co_u32_e32 v3, vcc, v3, v6, vcc
	v_cmp_le_i64_e32 vcc, s[36:37], v[4:5]
	s_andn2_b64 s[12:13], s[12:13], exec
	s_orn2_b64 s[14:15], vcc, exec
	s_branch .LBB6_14
.LBB6_23:
	s_or_b64 exec, exec, s[10:11]
	s_mov_b64 s[4:5], -1
	s_mov_b64 s[6:7], s[34:35]
	s_and_saveexec_b64 s[10:11], s[8:9]
	s_xor_b64 s[54:55], exec, s[10:11]
	s_cbranch_execz .LBB6_25
; %bb.24:
	s_add_u32 s8, s26, 56
	s_addc_u32 s9, s27, 0
	s_getpc_b64 s[4:5]
	s_add_u32 s4, s4, .str.10@rel32@lo+4
	s_addc_u32 s5, s5, .str.10@rel32@hi+12
	s_getpc_b64 s[6:7]
	s_add_u32 s6, s6, __PRETTY_FUNCTION__._ZN9rocsolver6v33100L9idx_lowerIlEET_S2_S2_S2_@rel32@lo+4
	s_addc_u32 s7, s7, __PRETTY_FUNCTION__._ZN9rocsolver6v33100L9idx_lowerIlEET_S2_S2_S2_@rel32@hi+12
	s_getpc_b64 s[10:11]
	s_add_u32 s10, s10, __assert_fail@rel32@lo+4
	s_addc_u32 s11, s11, __assert_fail@rel32@hi+12
	v_mov_b32_e32 v0, s4
	v_mov_b32_e32 v1, s5
	;; [unrolled: 1-line block ×5, first 2 shown]
	s_swappc_b64 s[30:31], s[10:11]
	s_or_b64 s[6:7], s[34:35], exec
	s_xor_b64 s[4:5], exec, -1
.LBB6_25:
	s_or_b64 exec, exec, s[54:55]
	s_andn2_b64 s[8:9], s[34:35], exec
	s_and_b64 s[6:7], s[6:7], exec
	s_or_b64 s[34:35], s[8:9], s[6:7]
	s_orn2_b64 s[4:5], s[4:5], exec
.LBB6_26:
	s_or_b64 exec, exec, s[50:51]
	s_branch .LBB6_8
.LBB6_27:
	s_and_saveexec_b64 s[4:5], s[28:29]
	s_cbranch_execz .LBB6_33
; %bb.28:
	s_lshl_b64 s[6:7], s[36:37], 1
	v_mov_b32_e32 v0, s7
	v_sub_co_u32_e32 v1, vcc, s6, v43
	v_subbrev_co_u32_e32 v2, vcc, 0, v0, vcc
	v_add_co_u32_e32 v0, vcc, 1, v1
	v_addc_co_u32_e32 v1, vcc, 0, v2, vcc
	v_mad_u64_u32 v[2:3], s[6:7], s42, v41, 0
	s_mul_i32 s8, s45, s48
	s_mul_hi_u32 s9, s44, s48
	v_mad_u64_u32 v[3:4], s[6:7], s43, v41, v[3:4]
	s_add_i32 s7, s9, s8
	s_mul_i32 s6, s44, s48
	s_lshl_b64 s[6:7], s[6:7], 2
	s_lshl_b64 s[8:9], s[40:41], 2
	v_lshlrev_b64 v[2:3], 2, v[2:3]
	s_add_u32 s6, s8, s6
	s_addc_u32 s7, s9, s7
	v_mov_b32_e32 v4, s7
	v_add_co_u32_e32 v2, vcc, s6, v2
	v_addc_co_u32_e32 v3, vcc, v4, v3, vcc
	v_lshlrev_b32_e32 v4, 2, v43
	v_add_co_u32_e32 v2, vcc, v2, v4
	v_addc_co_u32_e32 v3, vcc, 0, v3, vcc
	v_mov_b32_e32 v4, s39
	v_add_co_u32_e32 v2, vcc, s38, v2
	s_mul_i32 s6, s43, s56
	s_mul_hi_u32 s7, s42, s56
	v_addc_co_u32_e32 v3, vcc, v4, v3, vcc
	s_add_i32 s7, s7, s6
	s_mul_i32 s6, s42, s56
	v_mov_b32_e32 v4, v41
	v_mov_b32_e32 v44, 0
	v_sub_u32_e32 v12, v41, v43
	s_lshl_b64 s[6:7], s[6:7], 2
	s_lshl_b32 s14, s57, 2
	s_mov_b64 s[8:9], 0
	v_mov_b32_e32 v5, v42
	s_branch .LBB6_30
.LBB6_29:                               ;   in Loop: Header=BB6_30 Depth=1
	s_or_b64 exec, exec, s[10:11]
	v_add_co_u32_e32 v4, vcc, s56, v4
	v_addc_co_u32_e32 v5, vcc, 0, v5, vcc
	v_cmp_le_i64_e32 vcc, s[36:37], v[4:5]
	v_mov_b32_e32 v6, s7
	s_or_b64 s[8:9], vcc, s[8:9]
	v_add_co_u32_e32 v2, vcc, s6, v2
	v_add_u32_e32 v12, s56, v12
	v_addc_co_u32_e32 v3, vcc, v3, v6, vcc
	s_andn2_b64 exec, exec, s[8:9]
	s_cbranch_execz .LBB6_33
.LBB6_30:                               ; =>This Loop Header: Depth=1
                                        ;     Child Loop BB6_32 Depth 2
	v_cmp_ge_u64_e32 vcc, v[4:5], v[43:44]
	s_and_saveexec_b64 s[10:11], vcc
	s_cbranch_execz .LBB6_29
; %bb.31:                               ;   in Loop: Header=BB6_30 Depth=1
	v_mov_b32_e32 v7, v3
	v_mov_b32_e32 v9, v1
	;; [unrolled: 1-line block ×3, first 2 shown]
	s_mov_b64 s[12:13], 0
	v_mov_b32_e32 v6, v2
	v_mov_b32_e32 v13, v12
	;; [unrolled: 1-line block ×4, first 2 shown]
.LBB6_32:                               ;   Parent Loop BB6_30 Depth=1
                                        ; =>  This Inner Loop Header: Depth=2
	global_load_dword v16, v[6:7], off
	v_mul_lo_u32 v17, v9, v10
	v_mul_lo_u32 v18, v8, v11
	v_mad_u64_u32 v[14:15], s[16:17], v8, v10, 0
	v_add_co_u32_e32 v10, vcc, s57, v10
	v_addc_co_u32_e32 v11, vcc, 0, v11, vcc
	v_subrev_co_u32_e32 v8, vcc, s57, v8
	v_subbrev_co_u32_e32 v9, vcc, 0, v9, vcc
	v_add3_u32 v15, v15, v18, v17
	v_add_co_u32_e32 v6, vcc, s14, v6
	v_lshrrev_b32_e32 v15, 31, v15
	v_addc_co_u32_e32 v7, vcc, 0, v7, vcc
	v_add_u32_e32 v14, v14, v15
	v_cmp_gt_u64_e32 vcc, v[10:11], v[4:5]
	v_lshrrev_b32_e32 v14, 1, v14
	v_add_u32_e32 v14, v13, v14
	s_or_b64 s[12:13], vcc, s[12:13]
	v_subrev_u32_e32 v13, s57, v13
	v_lshl_add_u32 v14, v14, 2, 0
	s_waitcnt vmcnt(0)
	ds_write_b32 v14, v16
	s_andn2_b64 exec, exec, s[12:13]
	s_cbranch_execnz .LBB6_32
	s_branch .LBB6_29
.LBB6_33:
	s_or_b64 exec, exec, s[4:5]
	s_mov_b64 s[4:5], -1
	s_and_saveexec_b64 s[50:51], s[4:5]
	s_cbranch_execz .LBB6_87
.LBB6_34:
	v_cmp_lt_i64_e64 s[4:5], s[36:37], 1
	s_waitcnt lgkmcnt(0)
	s_and_b64 vcc, exec, s[4:5]
	s_barrier
	s_cbranch_vccnz .LBB6_59
; %bb.35:
	s_mul_i32 s30, s56, s57
	v_mul_lo_u32 v0, s30, v45
	s_lshl_b64 s[4:5], s[48:49], 2
	s_add_u32 s10, s46, s4
	v_mul_u32_u24_e32 v1, s57, v41
	s_addc_u32 s11, s47, s5
	v_add3_u32 v6, v1, v43, v0
	s_lshl_b64 s[12:13], s[36:37], 1
	s_or_b32 s12, s12, 1
	v_cmp_eq_u32_e64 s[4:5], 0, v6
	v_mov_b32_e32 v7, 0
	s_lshl_b32 s31, s30, 2
	s_lshl_b32 s33, s57, 2
	v_sub_u32_e32 v8, v43, v41
	s_mov_b64 s[16:17], 0
	v_mov_b32_e32 v9, 0x180
	s_mov_b32 s46, 0xf800000
	v_mov_b32_e32 v10, 0x260
	s_mov_b64 s[14:15], 0
	s_branch .LBB6_37
.LBB6_36:                               ;   in Loop: Header=BB6_37 Depth=1
	s_andn2_b64 vcc, exec, s[8:9]
	s_cbranch_vccz .LBB6_59
.LBB6_37:                               ; =>This Loop Header: Depth=1
                                        ;     Child Loop BB6_48 Depth 2
                                        ;     Child Loop BB6_52 Depth 2
                                        ;       Child Loop BB6_55 Depth 3
	s_add_u32 s6, s16, s12
	s_addc_u32 s7, s17, s13
	s_mul_i32 s8, s6, s15
	s_mul_hi_u32 s9, s6, s14
	s_add_i32 s8, s9, s8
	s_mul_i32 s7, s7, s14
	s_add_i32 s8, s8, s7
	s_mul_i32 s6, s6, s14
	s_lshr_b32 s7, s8, 31
	s_add_u32 s6, s6, s7
	s_addc_u32 s7, s8, 0
	s_ashr_i64 s[18:19], s[6:7], 1
	s_lshl_b32 s6, s18, 2
	s_add_i32 s17, s6, 0
	v_mov_b32_e32 v0, s17
	ds_read_b32 v0, v0
	s_mov_b64 s[8:9], -1
	s_waitcnt lgkmcnt(0)
	v_cmp_class_f32_e64 s[6:7], v0, v9
	s_and_b64 vcc, exec, s[6:7]
	s_cbranch_vccz .LBB6_40
; %bb.38:                               ;   in Loop: Header=BB6_37 Depth=1
	s_andn2_b64 vcc, exec, s[8:9]
	s_cbranch_vccz .LBB6_44
.LBB6_39:                               ;   in Loop: Header=BB6_37 Depth=1
	s_mov_b64 s[8:9], -1
	s_and_b64 vcc, exec, s[6:7]
                                        ; implicit-def: $sgpr16_sgpr17
	s_cbranch_vccz .LBB6_36
	s_branch .LBB6_58
.LBB6_40:                               ;   in Loop: Header=BB6_37 Depth=1
	s_and_saveexec_b64 s[8:9], s[4:5]
	s_cbranch_execz .LBB6_43
; %bb.41:                               ;   in Loop: Header=BB6_37 Depth=1
	global_load_dword v1, v7, s[10:11]
	s_waitcnt vmcnt(0)
	v_cmp_ne_u32_e32 vcc, 0, v1
	s_cbranch_vccnz .LBB6_43
; %bb.42:                               ;   in Loop: Header=BB6_37 Depth=1
	s_add_i32 s19, s14, 1
	v_mov_b32_e32 v1, s19
	global_store_dword v7, v1, s[10:11]
.LBB6_43:                               ;   in Loop: Header=BB6_37 Depth=1
	s_or_b64 exec, exec, s[8:9]
	s_cbranch_execnz .LBB6_39
.LBB6_44:                               ;   in Loop: Header=BB6_37 Depth=1
	v_mul_f32_e32 v1, 0x4f800000, v0
	v_cmp_gt_f32_e32 vcc, s46, v0
	v_cndmask_b32_e32 v0, v0, v1, vcc
	v_sqrt_f32_e32 v1, v0
	v_add_u32_e32 v2, -1, v1
	v_fma_f32 v4, -v2, v1, v0
	v_add_u32_e32 v3, 1, v1
	v_cmp_ge_f32_e64 s[8:9], 0, v4
	v_cndmask_b32_e64 v2, v1, v2, s[8:9]
	v_fma_f32 v1, -v3, v1, v0
	v_cmp_lt_f32_e64 s[8:9], 0, v1
	v_cndmask_b32_e64 v1, v2, v3, s[8:9]
	v_mul_f32_e32 v2, 0x37800000, v1
	v_cndmask_b32_e32 v1, v1, v2, vcc
	v_cmp_class_f32_e32 vcc, v0, v10
	v_cndmask_b32_e32 v2, v1, v0, vcc
	s_and_saveexec_b64 s[8:9], s[4:5]
; %bb.45:                               ;   in Loop: Header=BB6_37 Depth=1
	v_mov_b32_e32 v0, s17
	ds_write_b32 v0, v2
; %bb.46:                               ;   in Loop: Header=BB6_37 Depth=1
	s_or_b64 exec, exec, s[8:9]
	s_add_u32 s17, s14, 1
	s_addc_u32 s19, s15, 0
	v_mov_b32_e32 v1, s19
	v_add_co_u32_e32 v0, vcc, s17, v6
	v_addc_co_u32_e32 v1, vcc, 0, v1, vcc
	v_cmp_gt_i64_e32 vcc, s[36:37], v[0:1]
	s_waitcnt vmcnt(0) lgkmcnt(0)
	s_barrier
	s_and_saveexec_b64 s[8:9], vcc
	s_cbranch_execz .LBB6_49
; %bb.47:                               ;   in Loop: Header=BB6_37 Depth=1
	v_add_lshl_u32 v3, v6, s18, 2
	v_add3_u32 v3, 0, 4, v3
	s_mov_b64 s[20:21], 0
.LBB6_48:                               ;   Parent Loop BB6_37 Depth=1
                                        ; =>  This Inner Loop Header: Depth=2
	ds_read_b32 v4, v3
	s_waitcnt lgkmcnt(0)
	v_div_scale_f32 v5, s[22:23], v2, v2, v4
	v_div_scale_f32 v11, vcc, v4, v2, v4
	v_rcp_f32_e32 v12, v5
	v_fma_f32 v13, -v5, v12, 1.0
	v_fmac_f32_e32 v12, v13, v12
	v_mul_f32_e32 v13, v11, v12
	v_fma_f32 v14, -v5, v13, v11
	v_fmac_f32_e32 v13, v14, v12
	v_fma_f32 v5, -v5, v13, v11
	v_div_fmas_f32 v5, v5, v12, v13
	v_add_co_u32_e32 v0, vcc, s30, v0
	v_addc_co_u32_e32 v1, vcc, 0, v1, vcc
	v_cmp_le_i64_e32 vcc, s[36:37], v[0:1]
	s_or_b64 s[20:21], vcc, s[20:21]
	v_div_fixup_f32 v4, v5, v2, v4
	ds_write_b32 v3, v4
	v_add_u32_e32 v3, s31, v3
	s_andn2_b64 exec, exec, s[20:21]
	s_cbranch_execnz .LBB6_48
.LBB6_49:                               ;   in Loop: Header=BB6_37 Depth=1
	s_or_b64 exec, exec, s[8:9]
	v_mov_b32_e32 v1, s19
	v_add_co_u32_e32 v0, vcc, s17, v41
	v_addc_co_u32_e32 v1, vcc, 0, v1, vcc
	v_cmp_gt_i64_e32 vcc, s[36:37], v[0:1]
	s_waitcnt lgkmcnt(0)
	s_barrier
	s_and_saveexec_b64 s[20:21], vcc
	s_cbranch_execz .LBB6_57
; %bb.50:                               ;   in Loop: Header=BB6_37 Depth=1
	v_mov_b32_e32 v3, s19
	v_add_co_u32_e32 v2, vcc, s17, v43
	v_addc_co_u32_e32 v3, vcc, 0, v3, vcc
	v_cmp_gt_i64_e32 vcc, s[36:37], v[2:3]
	s_add_u32 s47, s18, s16
	v_add_lshl_u32 v11, v43, s18, 2
	s_mov_b64 s[16:17], 0
	v_mov_b32_e32 v12, v8
	s_branch .LBB6_52
.LBB6_51:                               ;   in Loop: Header=BB6_52 Depth=2
	s_or_b64 exec, exec, s[18:19]
	v_add_co_u32_e64 v0, s[8:9], s56, v0
	v_addc_co_u32_e64 v1, s[8:9], 0, v1, s[8:9]
	v_cmp_le_i64_e64 s[8:9], s[36:37], v[0:1]
	v_subrev_u32_e32 v12, s56, v12
	s_or_b64 s[16:17], s[8:9], s[16:17]
	s_andn2_b64 exec, exec, s[16:17]
	s_cbranch_execz .LBB6_57
.LBB6_52:                               ;   Parent Loop BB6_37 Depth=1
                                        ; =>  This Loop Header: Depth=2
                                        ;       Child Loop BB6_55 Depth 3
	s_and_saveexec_b64 s[18:19], vcc
	s_cbranch_execz .LBB6_51
; %bb.53:                               ;   in Loop: Header=BB6_52 Depth=2
	v_mov_b32_e32 v4, s13
	v_sub_co_u32_e64 v5, s[8:9], s12, v0
	v_subb_co_u32_e64 v4, s[8:9], v4, v1, s[8:9]
	v_mul_lo_u32 v14, v4, v0
	v_mul_lo_u32 v15, v5, v1
	v_mad_u64_u32 v[4:5], s[8:9], v5, v0, 0
	s_waitcnt lgkmcnt(0)
	v_add_u32_e32 v13, s47, v0
	v_lshl_add_u32 v13, v13, 2, 0
	v_add3_u32 v5, v5, v15, v14
	ds_read_b32 v13, v13
	v_lshrrev_b32_e32 v5, 31, v5
	v_add_u32_e32 v4, v4, v5
	v_lshrrev_b32_e32 v4, 1, v4
	v_add_lshl_u32 v14, v12, v4, 2
	v_mov_b32_e32 v5, v3
	s_mov_b32 s49, 0
	s_mov_b64 s[22:23], 0
	v_mov_b32_e32 v4, v2
	s_branch .LBB6_55
.LBB6_54:                               ;   in Loop: Header=BB6_55 Depth=3
	s_or_b64 exec, exec, s[24:25]
	v_add_co_u32_e64 v4, s[8:9], s57, v4
	v_addc_co_u32_e64 v5, s[8:9], 0, v5, s[8:9]
	v_cmp_le_i64_e64 s[8:9], s[36:37], v[4:5]
	s_add_i32 s49, s49, s33
	s_or_b64 s[22:23], s[8:9], s[22:23]
	s_andn2_b64 exec, exec, s[22:23]
	s_cbranch_execz .LBB6_51
.LBB6_55:                               ;   Parent Loop BB6_37 Depth=1
                                        ;     Parent Loop BB6_52 Depth=2
                                        ; =>    This Inner Loop Header: Depth=3
	v_cmp_ge_u64_e64 s[8:9], v[4:5], v[0:1]
	s_and_saveexec_b64 s[24:25], s[8:9]
	s_cbranch_execz .LBB6_54
; %bb.56:                               ;   in Loop: Header=BB6_55 Depth=3
	v_add_u32_e32 v15, s49, v11
	v_add_u32_e32 v16, s49, v14
	ds_read_b32 v15, v15 offset:4
	ds_read_b32 v17, v16
	s_waitcnt lgkmcnt(0)
	v_fma_f32 v15, -v13, v15, v17
	ds_write_b32 v16, v15
	s_branch .LBB6_54
.LBB6_57:                               ;   in Loop: Header=BB6_37 Depth=1
	s_or_b64 exec, exec, s[20:21]
	s_waitcnt lgkmcnt(0)
	s_barrier
	s_mov_b64 s[8:9], -1
	s_and_b64 vcc, exec, s[6:7]
                                        ; implicit-def: $sgpr16_sgpr17
	s_cbranch_vccz .LBB6_36
.LBB6_58:                               ;   in Loop: Header=BB6_37 Depth=1
	s_add_u32 s6, s14, 1
	s_addc_u32 s7, s15, 0
	s_not_b64 s[16:17], s[14:15]
	s_cmp_eq_u64 s[6:7], s[36:37]
	s_cselect_b64 s[8:9], -1, 0
	s_mov_b64 s[14:15], s[6:7]
	s_branch .LBB6_36
.LBB6_59:
	s_andn2_b64 vcc, exec, s[52:53]
	s_waitcnt vmcnt(0)
	s_barrier
	s_cbranch_vccnz .LBB6_71
; %bb.60:
	s_mov_b64 s[6:7], -1
	s_mov_b64 s[4:5], s[34:35]
	s_and_saveexec_b64 s[46:47], s[28:29]
	s_cbranch_execz .LBB6_75
; %bb.61:
	v_mad_u64_u32 v[2:3], s[4:5], s42, v41, 0
	s_mul_i32 s8, s45, s48
	s_mul_hi_u32 s9, s44, s48
	v_mad_u64_u32 v[3:4], s[4:5], s43, v41, v[3:4]
	s_lshl_b64 s[6:7], s[36:37], 1
	s_add_i32 s5, s9, s8
	s_mul_i32 s4, s44, s48
	s_or_b32 s6, s6, 1
	s_lshl_b64 s[4:5], s[4:5], 2
	s_lshl_b64 s[8:9], s[40:41], 2
	v_lshlrev_b64 v[2:3], 2, v[2:3]
	s_add_u32 s4, s8, s4
	s_addc_u32 s5, s9, s5
	v_mov_b32_e32 v4, s5
	v_add_co_u32_e32 v2, vcc, s4, v2
	v_addc_co_u32_e32 v3, vcc, v4, v3, vcc
	v_add_lshl_u32 v4, v41, v43, 2
	v_add_co_u32_e32 v2, vcc, v2, v4
	s_lshl_b64 s[4:5], s[42:43], 2
	v_addc_co_u32_e32 v3, vcc, 0, v3, vcc
	s_add_u32 s4, s4, 4
	v_mov_b32_e32 v4, s39
	v_add_co_u32_e32 v2, vcc, s38, v2
	s_addc_u32 s5, s5, 0
	v_addc_co_u32_e32 v3, vcc, v4, v3, vcc
	s_mul_i32 s5, s5, s56
	s_mul_hi_u32 s8, s4, s56
	v_mov_b32_e32 v4, v41
	v_mov_b32_e32 v1, 0
	v_add_u32_e32 v0, v41, v43
	s_add_i32 s30, s8, s5
	s_mul_i32 s31, s4, s56
	s_lshl_b32 s33, s57, 2
	s_mov_b64 s[10:11], 0
	v_mov_b32_e32 v5, v42
                                        ; implicit-def: $sgpr8_sgpr9
                                        ; implicit-def: $sgpr12_sgpr13
	s_branch .LBB6_63
.LBB6_62:                               ;   in Loop: Header=BB6_63 Depth=1
	s_or_b64 exec, exec, s[4:5]
	s_and_b64 s[4:5], exec, s[14:15]
	s_or_b64 s[10:11], s[4:5], s[10:11]
	s_andn2_b64 s[4:5], s[8:9], exec
	s_and_b64 s[8:9], s[12:13], exec
	s_or_b64 s[8:9], s[4:5], s[8:9]
	s_andn2_b64 exec, exec, s[10:11]
	s_cbranch_execz .LBB6_72
.LBB6_63:                               ; =>This Loop Header: Depth=1
                                        ;     Child Loop BB6_66 Depth 2
	v_add_co_u32_e32 v6, vcc, v4, v43
	v_addc_co_u32_e32 v7, vcc, 0, v5, vcc
	v_cmp_gt_i64_e32 vcc, s[36:37], v[6:7]
	s_mov_b64 s[16:17], -1
	s_and_saveexec_b64 s[14:15], vcc
	s_cbranch_execz .LBB6_69
; %bb.64:                               ;   in Loop: Header=BB6_63 Depth=1
	v_mov_b32_e32 v8, s7
	v_sub_co_u32_e32 v9, vcc, s6, v4
	v_subb_co_u32_e32 v8, vcc, v8, v5, vcc
	v_mul_lo_u32 v10, v8, v4
	v_mul_lo_u32 v11, v9, v5
	v_mad_u64_u32 v[8:9], s[4:5], v9, v4, 0
	v_cmp_ge_u64_e32 vcc, v[0:1], v[4:5]
	s_mov_b64 s[16:17], 0
	v_add3_u32 v9, v9, v11, v10
	v_lshrrev_b32_e32 v9, 31, v9
	v_add_u32_e32 v8, v8, v9
	v_lshrrev_b32_e32 v8, 1, v8
	v_add_u32_e32 v8, v43, v8
	v_lshl_add_u32 v10, v8, 2, 0
	v_mov_b32_e32 v9, v3
	v_mov_b32_e32 v8, v2
                                        ; implicit-def: $sgpr18_sgpr19
                                        ; implicit-def: $sgpr22_sgpr23
                                        ; implicit-def: $sgpr20_sgpr21
	s_branch .LBB6_66
.LBB6_65:                               ;   in Loop: Header=BB6_66 Depth=2
	s_or_b64 exec, exec, s[24:25]
	s_xor_b64 s[4:5], s[20:21], -1
	s_and_b64 s[24:25], exec, s[22:23]
	s_or_b64 s[16:17], s[24:25], s[16:17]
	s_andn2_b64 s[18:19], s[18:19], exec
	s_and_b64 s[4:5], s[4:5], exec
	s_or_b64 s[18:19], s[18:19], s[4:5]
	s_andn2_b64 exec, exec, s[16:17]
	s_cbranch_execz .LBB6_68
.LBB6_66:                               ;   Parent Loop BB6_63 Depth=1
                                        ; =>  This Inner Loop Header: Depth=2
	s_or_b64 s[20:21], s[20:21], exec
	s_or_b64 s[22:23], s[22:23], exec
	s_and_saveexec_b64 s[24:25], vcc
	s_cbranch_execz .LBB6_65
; %bb.67:                               ;   in Loop: Header=BB6_66 Depth=2
	ds_read_b32 v11, v10
	v_add_co_u32_e64 v6, s[4:5], s57, v6
	v_addc_co_u32_e64 v7, s[4:5], 0, v7, s[4:5]
	s_waitcnt lgkmcnt(0)
	global_store_dword v[8:9], v11, off
	v_add_co_u32_e64 v8, s[4:5], s33, v8
	v_addc_co_u32_e64 v9, s[4:5], 0, v9, s[4:5]
	v_cmp_le_i64_e64 s[4:5], s[36:37], v[6:7]
	s_andn2_b64 s[22:23], s[22:23], exec
	s_and_b64 s[4:5], s[4:5], exec
	v_add_u32_e32 v10, s33, v10
	s_andn2_b64 s[20:21], s[20:21], exec
	s_or_b64 s[22:23], s[22:23], s[4:5]
	s_branch .LBB6_65
.LBB6_68:                               ;   in Loop: Header=BB6_63 Depth=1
	s_or_b64 exec, exec, s[16:17]
	s_orn2_b64 s[16:17], s[18:19], exec
.LBB6_69:                               ;   in Loop: Header=BB6_63 Depth=1
	s_or_b64 exec, exec, s[14:15]
	s_mov_b64 s[14:15], -1
	s_or_b64 s[12:13], s[12:13], exec
	s_and_saveexec_b64 s[4:5], s[16:17]
	s_cbranch_execz .LBB6_62
; %bb.70:                               ;   in Loop: Header=BB6_63 Depth=1
	v_add_co_u32_e32 v4, vcc, s56, v4
	v_addc_co_u32_e32 v5, vcc, 0, v5, vcc
	v_add_co_u32_e32 v0, vcc, s56, v0
	v_addc_co_u32_e32 v1, vcc, 0, v1, vcc
	v_mov_b32_e32 v6, s30
	v_add_co_u32_e32 v2, vcc, s31, v2
	v_addc_co_u32_e32 v3, vcc, v3, v6, vcc
	v_cmp_le_i64_e32 vcc, s[36:37], v[4:5]
	s_andn2_b64 s[12:13], s[12:13], exec
	s_orn2_b64 s[14:15], vcc, exec
	s_branch .LBB6_62
.LBB6_71:
	s_mov_b64 s[8:9], -1
	s_mov_b64 s[6:7], 0
	s_mov_b64 s[4:5], s[34:35]
	s_branch .LBB6_76
.LBB6_72:
	s_or_b64 exec, exec, s[10:11]
	s_mov_b64 s[6:7], -1
	s_mov_b64 s[4:5], s[34:35]
	s_and_saveexec_b64 s[10:11], s[8:9]
	s_xor_b64 s[52:53], exec, s[10:11]
	s_cbranch_execz .LBB6_74
; %bb.73:
	s_add_u32 s8, s26, 56
	s_addc_u32 s9, s27, 0
	s_getpc_b64 s[4:5]
	s_add_u32 s4, s4, .str.10@rel32@lo+4
	s_addc_u32 s5, s5, .str.10@rel32@hi+12
	s_getpc_b64 s[6:7]
	s_add_u32 s6, s6, __PRETTY_FUNCTION__._ZN9rocsolver6v33100L9idx_lowerIlEET_S2_S2_S2_@rel32@lo+4
	s_addc_u32 s7, s7, __PRETTY_FUNCTION__._ZN9rocsolver6v33100L9idx_lowerIlEET_S2_S2_S2_@rel32@hi+12
	s_getpc_b64 s[10:11]
	s_add_u32 s10, s10, __assert_fail@rel32@lo+4
	s_addc_u32 s11, s11, __assert_fail@rel32@hi+12
	v_mov_b32_e32 v0, s4
	v_mov_b32_e32 v1, s5
	;; [unrolled: 1-line block ×5, first 2 shown]
	s_swappc_b64 s[30:31], s[10:11]
	s_or_b64 s[4:5], s[34:35], exec
	s_xor_b64 s[6:7], exec, -1
.LBB6_74:
	s_or_b64 exec, exec, s[52:53]
	s_andn2_b64 s[8:9], s[34:35], exec
	s_and_b64 s[4:5], s[4:5], exec
	s_or_b64 s[4:5], s[8:9], s[4:5]
	s_orn2_b64 s[6:7], s[6:7], exec
.LBB6_75:
	s_or_b64 exec, exec, s[46:47]
	s_mov_b64 s[8:9], 0
.LBB6_76:
	s_and_b64 vcc, exec, s[8:9]
	s_cbranch_vccz .LBB6_84
; %bb.77:
	s_and_saveexec_b64 s[6:7], s[28:29]
	s_cbranch_execz .LBB6_83
; %bb.78:
	s_lshl_b64 s[8:9], s[36:37], 1
	v_mov_b32_e32 v0, s9
	v_sub_co_u32_e32 v1, vcc, s8, v43
	v_subbrev_co_u32_e32 v2, vcc, 0, v0, vcc
	v_add_co_u32_e32 v0, vcc, 1, v1
	v_addc_co_u32_e32 v1, vcc, 0, v2, vcc
	v_mad_u64_u32 v[2:3], s[8:9], s42, v41, 0
	s_mul_i32 s10, s45, s48
	s_mul_hi_u32 s11, s44, s48
	v_mad_u64_u32 v[3:4], s[8:9], s43, v41, v[3:4]
	s_add_i32 s9, s11, s10
	s_mul_i32 s8, s44, s48
	s_lshl_b64 s[8:9], s[8:9], 2
	s_lshl_b64 s[10:11], s[40:41], 2
	v_lshlrev_b64 v[2:3], 2, v[2:3]
	s_add_u32 s8, s10, s8
	s_addc_u32 s9, s11, s9
	v_mov_b32_e32 v4, s9
	v_add_co_u32_e32 v2, vcc, s8, v2
	v_addc_co_u32_e32 v3, vcc, v4, v3, vcc
	v_lshlrev_b32_e32 v4, 2, v43
	v_add_co_u32_e32 v2, vcc, v2, v4
	v_addc_co_u32_e32 v3, vcc, 0, v3, vcc
	s_mul_i32 s8, s43, s56
	s_mul_hi_u32 s9, s42, s56
	v_mov_b32_e32 v4, s39
	v_add_co_u32_e32 v2, vcc, s38, v2
	s_add_i32 s9, s9, s8
	s_mul_i32 s8, s42, s56
	v_mov_b32_e32 v44, 0
	v_sub_u32_e32 v10, v41, v43
	v_addc_co_u32_e32 v3, vcc, v4, v3, vcc
	s_lshl_b64 s[8:9], s[8:9], 2
	s_lshl_b32 s16, s57, 2
	s_mov_b64 s[10:11], 0
	s_branch .LBB6_80
.LBB6_79:                               ;   in Loop: Header=BB6_80 Depth=1
	s_or_b64 exec, exec, s[12:13]
	v_add_co_u32_e32 v41, vcc, s56, v41
	v_addc_co_u32_e32 v42, vcc, 0, v42, vcc
	v_cmp_le_i64_e32 vcc, s[36:37], v[41:42]
	v_mov_b32_e32 v4, s9
	s_or_b64 s[10:11], vcc, s[10:11]
	v_add_co_u32_e32 v2, vcc, s8, v2
	v_add_u32_e32 v10, s56, v10
	v_addc_co_u32_e32 v3, vcc, v3, v4, vcc
	s_andn2_b64 exec, exec, s[10:11]
	s_cbranch_execz .LBB6_83
.LBB6_80:                               ; =>This Loop Header: Depth=1
                                        ;     Child Loop BB6_82 Depth 2
	v_cmp_ge_u64_e32 vcc, v[41:42], v[43:44]
	s_and_saveexec_b64 s[12:13], vcc
	s_cbranch_execz .LBB6_79
; %bb.81:                               ;   in Loop: Header=BB6_80 Depth=1
	v_mov_b32_e32 v5, v3
	v_mov_b32_e32 v7, v1
	;; [unrolled: 1-line block ×3, first 2 shown]
	s_mov_b64 s[14:15], 0
	v_mov_b32_e32 v4, v2
	v_mov_b32_e32 v11, v10
	;; [unrolled: 1-line block ×4, first 2 shown]
.LBB6_82:                               ;   Parent Loop BB6_80 Depth=1
                                        ; =>  This Inner Loop Header: Depth=2
	v_mul_lo_u32 v14, v7, v8
	v_mul_lo_u32 v15, v6, v9
	v_mad_u64_u32 v[12:13], s[18:19], v6, v8, 0
	v_add_co_u32_e32 v8, vcc, s57, v8
	v_add3_u32 v13, v13, v15, v14
	v_lshrrev_b32_e32 v13, 31, v13
	v_add_u32_e32 v12, v12, v13
	v_lshrrev_b32_e32 v12, 1, v12
	v_add_u32_e32 v12, v11, v12
	v_lshl_add_u32 v12, v12, 2, 0
	v_addc_co_u32_e32 v9, vcc, 0, v9, vcc
	ds_read_b32 v12, v12
	v_subrev_co_u32_e32 v6, vcc, s57, v6
	v_subbrev_co_u32_e32 v7, vcc, 0, v7, vcc
	v_cmp_gt_u64_e32 vcc, v[8:9], v[41:42]
	s_waitcnt lgkmcnt(0)
	global_store_dword v[4:5], v12, off
	s_or_b64 s[14:15], vcc, s[14:15]
	v_add_co_u32_e32 v4, vcc, s16, v4
	v_subrev_u32_e32 v11, s57, v11
	v_addc_co_u32_e32 v5, vcc, 0, v5, vcc
	s_andn2_b64 exec, exec, s[14:15]
	s_cbranch_execnz .LBB6_82
	s_branch .LBB6_79
.LBB6_83:
	s_or_b64 exec, exec, s[6:7]
	s_mov_b64 s[6:7], -1
.LBB6_84:
	s_and_saveexec_b64 s[8:9], s[6:7]
	s_xor_b64 s[6:7], exec, s[8:9]
	s_cbranch_execz .LBB6_86
; %bb.85:
	s_waitcnt vmcnt(0)
	s_barrier
.LBB6_86:
	s_or_b64 exec, exec, s[6:7]
	s_andn2_b64 s[6:7], s[34:35], exec
	s_and_b64 s[4:5], s[4:5], exec
	s_or_b64 s[34:35], s[6:7], s[4:5]
.LBB6_87:
	s_or_b64 exec, exec, s[50:51]
	s_branch .LBB6_89
.LBB6_88:
	s_add_u32 s8, s26, 56
	s_addc_u32 s9, s27, 0
	s_getpc_b64 s[4:5]
	s_add_u32 s4, s4, .str.4@rel32@lo+4
	s_addc_u32 s5, s5, .str.4@rel32@hi+12
	s_getpc_b64 s[6:7]
	s_add_u32 s6, s6, __PRETTY_FUNCTION__._ZN9rocsolver6v33100L18potf2_kernel_smallIfliPfEEvbT0_T2_lS3_lPT1_@rel32@lo+4
	s_addc_u32 s7, s7, __PRETTY_FUNCTION__._ZN9rocsolver6v33100L18potf2_kernel_smallIfliPfEEvbT0_T2_lS3_lPT1_@rel32@hi+12
	s_getpc_b64 s[10:11]
	s_add_u32 s10, s10, __assert_fail@rel32@lo+4
	s_addc_u32 s11, s11, __assert_fail@rel32@hi+12
	v_mov_b32_e32 v0, s4
	v_mov_b32_e32 v1, s5
	;; [unrolled: 1-line block ×5, first 2 shown]
	s_swappc_b64 s[30:31], s[10:11]
	s_or_b64 s[34:35], s[34:35], exec
.LBB6_89:
	s_branch .LBB6_91
.LBB6_90:
	s_add_u32 s8, s26, 56
	s_addc_u32 s9, s27, 0
	s_getpc_b64 s[4:5]
	s_add_u32 s4, s4, .str.3@rel32@lo+4
	s_addc_u32 s5, s5, .str.3@rel32@hi+12
	s_getpc_b64 s[6:7]
	s_add_u32 s6, s6, __PRETTY_FUNCTION__._ZN9rocsolver6v33100L18potf2_kernel_smallIfliPfEEvbT0_T2_lS3_lPT1_@rel32@lo+4
	s_addc_u32 s7, s7, __PRETTY_FUNCTION__._ZN9rocsolver6v33100L18potf2_kernel_smallIfliPfEEvbT0_T2_lS3_lPT1_@rel32@hi+12
	s_getpc_b64 s[10:11]
	s_add_u32 s10, s10, __assert_fail@rel32@lo+4
	s_addc_u32 s11, s11, __assert_fail@rel32@hi+12
	v_mov_b32_e32 v0, s4
	v_mov_b32_e32 v1, s5
	;; [unrolled: 1-line block ×5, first 2 shown]
	s_swappc_b64 s[30:31], s[10:11]
	s_or_b64 s[34:35], s[34:35], exec
.LBB6_91:
	s_branch .LBB6_93
.LBB6_92:
	s_add_u32 s8, s26, 56
	s_addc_u32 s9, s27, 0
	s_getpc_b64 s[4:5]
	s_add_u32 s4, s4, .str.2@rel32@lo+4
	s_addc_u32 s5, s5, .str.2@rel32@hi+12
	s_getpc_b64 s[6:7]
	s_add_u32 s6, s6, __PRETTY_FUNCTION__._ZN9rocsolver6v33100L18potf2_kernel_smallIfliPfEEvbT0_T2_lS3_lPT1_@rel32@lo+4
	s_addc_u32 s7, s7, __PRETTY_FUNCTION__._ZN9rocsolver6v33100L18potf2_kernel_smallIfliPfEEvbT0_T2_lS3_lPT1_@rel32@hi+12
	s_getpc_b64 s[10:11]
	s_add_u32 s10, s10, __assert_fail@rel32@lo+4
	s_addc_u32 s11, s11, __assert_fail@rel32@hi+12
	v_mov_b32_e32 v0, s4
	v_mov_b32_e32 v1, s5
	;; [unrolled: 1-line block ×5, first 2 shown]
	s_swappc_b64 s[30:31], s[10:11]
	s_or_b64 s[34:35], s[34:35], exec
.LBB6_93:
	s_and_saveexec_b64 s[4:5], s[34:35]
; %bb.94:
	; divergent unreachable
; %bb.95:
	s_endpgm
	.section	.rodata,"a",@progbits
	.p2align	6, 0x0
	.amdhsa_kernel _ZN9rocsolver6v33100L18potf2_kernel_smallIfliPfEEvbT0_T2_lS3_lPT1_
		.amdhsa_group_segment_fixed_size 0
		.amdhsa_private_segment_fixed_size 64
		.amdhsa_kernarg_size 312
		.amdhsa_user_sgpr_count 8
		.amdhsa_user_sgpr_private_segment_buffer 1
		.amdhsa_user_sgpr_dispatch_ptr 0
		.amdhsa_user_sgpr_queue_ptr 0
		.amdhsa_user_sgpr_kernarg_segment_ptr 1
		.amdhsa_user_sgpr_dispatch_id 0
		.amdhsa_user_sgpr_flat_scratch_init 1
		.amdhsa_user_sgpr_private_segment_size 0
		.amdhsa_uses_dynamic_stack 0
		.amdhsa_system_sgpr_private_segment_wavefront_offset 1
		.amdhsa_system_sgpr_workgroup_id_x 1
		.amdhsa_system_sgpr_workgroup_id_y 0
		.amdhsa_system_sgpr_workgroup_id_z 1
		.amdhsa_system_sgpr_workgroup_info 0
		.amdhsa_system_vgpr_workitem_id 2
		.amdhsa_next_free_vgpr 51
		.amdhsa_next_free_sgpr 58
		.amdhsa_reserve_vcc 1
		.amdhsa_reserve_flat_scratch 1
		.amdhsa_float_round_mode_32 0
		.amdhsa_float_round_mode_16_64 0
		.amdhsa_float_denorm_mode_32 3
		.amdhsa_float_denorm_mode_16_64 3
		.amdhsa_dx10_clamp 1
		.amdhsa_ieee_mode 1
		.amdhsa_fp16_overflow 0
		.amdhsa_exception_fp_ieee_invalid_op 0
		.amdhsa_exception_fp_denorm_src 0
		.amdhsa_exception_fp_ieee_div_zero 0
		.amdhsa_exception_fp_ieee_overflow 0
		.amdhsa_exception_fp_ieee_underflow 0
		.amdhsa_exception_fp_ieee_inexact 0
		.amdhsa_exception_int_div_zero 0
	.end_amdhsa_kernel
	.section	.text._ZN9rocsolver6v33100L18potf2_kernel_smallIfliPfEEvbT0_T2_lS3_lPT1_,"axG",@progbits,_ZN9rocsolver6v33100L18potf2_kernel_smallIfliPfEEvbT0_T2_lS3_lPT1_,comdat
.Lfunc_end6:
	.size	_ZN9rocsolver6v33100L18potf2_kernel_smallIfliPfEEvbT0_T2_lS3_lPT1_, .Lfunc_end6-_ZN9rocsolver6v33100L18potf2_kernel_smallIfliPfEEvbT0_T2_lS3_lPT1_
                                        ; -- End function
	.set _ZN9rocsolver6v33100L18potf2_kernel_smallIfliPfEEvbT0_T2_lS3_lPT1_.num_vgpr, max(46, .L__assert_fail.num_vgpr)
	.set _ZN9rocsolver6v33100L18potf2_kernel_smallIfliPfEEvbT0_T2_lS3_lPT1_.num_agpr, max(0, .L__assert_fail.num_agpr)
	.set _ZN9rocsolver6v33100L18potf2_kernel_smallIfliPfEEvbT0_T2_lS3_lPT1_.numbered_sgpr, max(58, .L__assert_fail.numbered_sgpr)
	.set _ZN9rocsolver6v33100L18potf2_kernel_smallIfliPfEEvbT0_T2_lS3_lPT1_.num_named_barrier, max(0, .L__assert_fail.num_named_barrier)
	.set _ZN9rocsolver6v33100L18potf2_kernel_smallIfliPfEEvbT0_T2_lS3_lPT1_.private_seg_size, 0+max(.L__assert_fail.private_seg_size)
	.set _ZN9rocsolver6v33100L18potf2_kernel_smallIfliPfEEvbT0_T2_lS3_lPT1_.uses_vcc, or(1, .L__assert_fail.uses_vcc)
	.set _ZN9rocsolver6v33100L18potf2_kernel_smallIfliPfEEvbT0_T2_lS3_lPT1_.uses_flat_scratch, or(1, .L__assert_fail.uses_flat_scratch)
	.set _ZN9rocsolver6v33100L18potf2_kernel_smallIfliPfEEvbT0_T2_lS3_lPT1_.has_dyn_sized_stack, or(0, .L__assert_fail.has_dyn_sized_stack)
	.set _ZN9rocsolver6v33100L18potf2_kernel_smallIfliPfEEvbT0_T2_lS3_lPT1_.has_recursion, or(0, .L__assert_fail.has_recursion)
	.set _ZN9rocsolver6v33100L18potf2_kernel_smallIfliPfEEvbT0_T2_lS3_lPT1_.has_indirect_call, or(0, .L__assert_fail.has_indirect_call)
	.section	.AMDGPU.csdata,"",@progbits
; Kernel info:
; codeLenInByte = 3896
; TotalNumSgprs: 64
; NumVgprs: 51
; ScratchSize: 64
; MemoryBound: 0
; FloatMode: 240
; IeeeMode: 1
; LDSByteSize: 0 bytes/workgroup (compile time only)
; SGPRBlocks: 7
; VGPRBlocks: 12
; NumSGPRsForWavesPerEU: 64
; NumVGPRsForWavesPerEU: 51
; Occupancy: 4
; WaveLimiterHint : 1
; COMPUTE_PGM_RSRC2:SCRATCH_EN: 1
; COMPUTE_PGM_RSRC2:USER_SGPR: 8
; COMPUTE_PGM_RSRC2:TRAP_HANDLER: 0
; COMPUTE_PGM_RSRC2:TGID_X_EN: 1
; COMPUTE_PGM_RSRC2:TGID_Y_EN: 0
; COMPUTE_PGM_RSRC2:TGID_Z_EN: 1
; COMPUTE_PGM_RSRC2:TIDIG_COMP_CNT: 2
	.section	.AMDGPU.gpr_maximums,"",@progbits
	.set amdgpu.max_num_vgpr, 51
	.set amdgpu.max_num_agpr, 0
	.set amdgpu.max_num_sgpr, 34
	.section	.AMDGPU.csdata,"",@progbits
	.type	__const.__assert_fail.fmt,@object ; @__const.__assert_fail.fmt
	.section	.rodata.str1.16,"aMS",@progbits,1
	.p2align	4, 0x0
__const.__assert_fail.fmt:
	.asciz	"%s:%u: %s: Device-side assertion `%s' failed.\n"
	.size	__const.__assert_fail.fmt, 47

	.type	.str,@object                    ; @.str
	.section	.rodata.str1.1,"aMS",@progbits,1
.str:
	.asciz	"hipBlockDim_z == 1"
	.size	.str, 19

	.type	.str.1,@object                  ; @.str.1
.str.1:
	.asciz	"/root/src/amdgpu-assembly/repos/ROCm__rocSOLVER/library/src/specialized/roclapack_potf2_specialized_kernels.hpp"
	.size	.str.1, 112

	.type	__PRETTY_FUNCTION__._ZN9rocsolver6v33100L18potf2_kernel_smallIfiiPfEEvbT0_T2_lS3_lPT1_,@object ; @__PRETTY_FUNCTION__._ZN9rocsolver6v33100L18potf2_kernel_smallIfiiPfEEvbT0_T2_lS3_lPT1_
__PRETTY_FUNCTION__._ZN9rocsolver6v33100L18potf2_kernel_smallIfiiPfEEvbT0_T2_lS3_lPT1_:
	.asciz	"void rocsolver::potf2_kernel_small(const bool, const I, U, const rocblas_stride, const I, const rocblas_stride, INFO *const) [T = float, I = int, INFO = int, U = float *]"
	.size	__PRETTY_FUNCTION__._ZN9rocsolver6v33100L18potf2_kernel_smallIfiiPfEEvbT0_T2_lS3_lPT1_, 171

	.type	.str.2,@object                  ; @.str.2
.str.2:
	.asciz	"AA != nullptr"
	.size	.str.2, 14

	.type	.str.3,@object                  ; @.str.3
.str.3:
	.asciz	"info != nullptr"
	.size	.str.3, 16

	.type	.str.4,@object                  ; @.str.4
.str.4:
	.asciz	"A != nullptr"
	.size	.str.4, 13

	.type	.str.8,@object                  ; @.str.8
.str.8:
	.asciz	"(0 <= i) && (i <= (n - 1))"
	.size	.str.8, 27

	.type	__PRETTY_FUNCTION__._ZN9rocsolver6v33100L9idx_lowerIiEET_S2_S2_S2_,@object ; @__PRETTY_FUNCTION__._ZN9rocsolver6v33100L9idx_lowerIiEET_S2_S2_S2_
__PRETTY_FUNCTION__._ZN9rocsolver6v33100L9idx_lowerIiEET_S2_S2_S2_:
	.asciz	"I rocsolver::idx_lower(I, I, I) [I = int]"
	.size	__PRETTY_FUNCTION__._ZN9rocsolver6v33100L9idx_lowerIiEET_S2_S2_S2_, 42

	.type	.str.9,@object                  ; @.str.9
.str.9:
	.asciz	"(0 <= j) && (j <= (n - 1))"
	.size	.str.9, 27

	.type	.str.10,@object                 ; @.str.10
.str.10:
	.asciz	"i >= j"
	.size	.str.10, 7

	.type	__PRETTY_FUNCTION__._ZN9rocsolver6v33100L18potf2_kernel_smallIfiiPKPfEEvbT0_T2_lS5_lPT1_,@object ; @__PRETTY_FUNCTION__._ZN9rocsolver6v33100L18potf2_kernel_smallIfiiPKPfEEvbT0_T2_lS5_lPT1_
__PRETTY_FUNCTION__._ZN9rocsolver6v33100L18potf2_kernel_smallIfiiPKPfEEvbT0_T2_lS5_lPT1_:
	.asciz	"void rocsolver::potf2_kernel_small(const bool, const I, U, const rocblas_stride, const I, const rocblas_stride, INFO *const) [T = float, I = int, INFO = int, U = float *const *]"
	.size	__PRETTY_FUNCTION__._ZN9rocsolver6v33100L18potf2_kernel_smallIfiiPKPfEEvbT0_T2_lS5_lPT1_, 178

	.type	__PRETTY_FUNCTION__._ZN9rocsolver6v33100L18potf2_kernel_smallIfllPfEEvbT0_T2_lS3_lPT1_,@object ; @__PRETTY_FUNCTION__._ZN9rocsolver6v33100L18potf2_kernel_smallIfllPfEEvbT0_T2_lS3_lPT1_
__PRETTY_FUNCTION__._ZN9rocsolver6v33100L18potf2_kernel_smallIfllPfEEvbT0_T2_lS3_lPT1_:
	.asciz	"void rocsolver::potf2_kernel_small(const bool, const I, U, const rocblas_stride, const I, const rocblas_stride, INFO *const) [T = float, I = long, INFO = long, U = float *]"
	.size	__PRETTY_FUNCTION__._ZN9rocsolver6v33100L18potf2_kernel_smallIfllPfEEvbT0_T2_lS3_lPT1_, 173

	.type	__PRETTY_FUNCTION__._ZN9rocsolver6v33100L9idx_lowerIlEET_S2_S2_S2_,@object ; @__PRETTY_FUNCTION__._ZN9rocsolver6v33100L9idx_lowerIlEET_S2_S2_S2_
__PRETTY_FUNCTION__._ZN9rocsolver6v33100L9idx_lowerIlEET_S2_S2_S2_:
	.asciz	"I rocsolver::idx_lower(I, I, I) [I = long]"
	.size	__PRETTY_FUNCTION__._ZN9rocsolver6v33100L9idx_lowerIlEET_S2_S2_S2_, 43

	.type	__PRETTY_FUNCTION__._ZN9rocsolver6v33100L18potf2_kernel_smallIfllPKPfEEvbT0_T2_lS5_lPT1_,@object ; @__PRETTY_FUNCTION__._ZN9rocsolver6v33100L18potf2_kernel_smallIfllPKPfEEvbT0_T2_lS5_lPT1_
__PRETTY_FUNCTION__._ZN9rocsolver6v33100L18potf2_kernel_smallIfllPKPfEEvbT0_T2_lS5_lPT1_:
	.asciz	"void rocsolver::potf2_kernel_small(const bool, const I, U, const rocblas_stride, const I, const rocblas_stride, INFO *const) [T = float, I = long, INFO = long, U = float *const *]"
	.size	__PRETTY_FUNCTION__._ZN9rocsolver6v33100L18potf2_kernel_smallIfllPKPfEEvbT0_T2_lS5_lPT1_, 180

	.type	__PRETTY_FUNCTION__._ZN9rocsolver6v33100L18potf2_kernel_smallIfliPfEEvbT0_T2_lS3_lPT1_,@object ; @__PRETTY_FUNCTION__._ZN9rocsolver6v33100L18potf2_kernel_smallIfliPfEEvbT0_T2_lS3_lPT1_
__PRETTY_FUNCTION__._ZN9rocsolver6v33100L18potf2_kernel_smallIfliPfEEvbT0_T2_lS3_lPT1_:
	.asciz	"void rocsolver::potf2_kernel_small(const bool, const I, U, const rocblas_stride, const I, const rocblas_stride, INFO *const) [T = float, I = long, INFO = int, U = float *]"
	.size	__PRETTY_FUNCTION__._ZN9rocsolver6v33100L18potf2_kernel_smallIfliPfEEvbT0_T2_lS3_lPT1_, 172

	.type	__hip_cuid_f33fa61eb635e9cb,@object ; @__hip_cuid_f33fa61eb635e9cb
	.section	.bss,"aw",@nobits
	.globl	__hip_cuid_f33fa61eb635e9cb
__hip_cuid_f33fa61eb635e9cb:
	.byte	0                               ; 0x0
	.size	__hip_cuid_f33fa61eb635e9cb, 1

	.ident	"AMD clang version 22.0.0git (https://github.com/RadeonOpenCompute/llvm-project roc-7.2.4 26084 f58b06dce1f9c15707c5f808fd002e18c2accf7e)"
	.section	".note.GNU-stack","",@progbits
	.addrsig
	.addrsig_sym __hip_cuid_f33fa61eb635e9cb
	.amdgpu_metadata
---
amdhsa.kernels:
  - .args:
      - .offset:         0
        .size:           1
        .value_kind:     by_value
      - .offset:         4
        .size:           4
        .value_kind:     by_value
      - .address_space:  global
        .offset:         8
        .size:           8
        .value_kind:     global_buffer
      - .offset:         16
        .size:           8
        .value_kind:     by_value
      - .offset:         24
        .size:           4
        .value_kind:     by_value
      - .offset:         32
        .size:           8
        .value_kind:     by_value
      - .address_space:  global
        .offset:         40
        .size:           8
        .value_kind:     global_buffer
      - .offset:         48
        .size:           4
        .value_kind:     hidden_block_count_x
      - .offset:         52
        .size:           4
        .value_kind:     hidden_block_count_y
      - .offset:         56
        .size:           4
        .value_kind:     hidden_block_count_z
      - .offset:         60
        .size:           2
        .value_kind:     hidden_group_size_x
      - .offset:         62
        .size:           2
        .value_kind:     hidden_group_size_y
      - .offset:         64
        .size:           2
        .value_kind:     hidden_group_size_z
      - .offset:         66
        .size:           2
        .value_kind:     hidden_remainder_x
      - .offset:         68
        .size:           2
        .value_kind:     hidden_remainder_y
      - .offset:         70
        .size:           2
        .value_kind:     hidden_remainder_z
      - .offset:         88
        .size:           8
        .value_kind:     hidden_global_offset_x
      - .offset:         96
        .size:           8
        .value_kind:     hidden_global_offset_y
      - .offset:         104
        .size:           8
        .value_kind:     hidden_global_offset_z
      - .offset:         112
        .size:           2
        .value_kind:     hidden_grid_dims
      - .offset:         128
        .size:           8
        .value_kind:     hidden_hostcall_buffer
      - .offset:         168
        .size:           4
        .value_kind:     hidden_dynamic_lds_size
    .group_segment_fixed_size: 0
    .kernarg_segment_align: 8
    .kernarg_segment_size: 304
    .language:       OpenCL C
    .language_version:
      - 2
      - 0
    .max_flat_workgroup_size: 1024
    .name:           _ZN9rocsolver6v33100L18potf2_kernel_smallIfiiPfEEvbT0_T2_lS3_lPT1_
    .private_segment_fixed_size: 64
    .sgpr_count:     95
    .sgpr_spill_count: 0
    .symbol:         _ZN9rocsolver6v33100L18potf2_kernel_smallIfiiPfEEvbT0_T2_lS3_lPT1_.kd
    .uniform_work_group_size: 1
    .uses_dynamic_stack: false
    .vgpr_count:     51
    .vgpr_spill_count: 0
    .wavefront_size: 64
  - .args:
      - .offset:         0
        .size:           1
        .value_kind:     by_value
      - .offset:         4
        .size:           4
        .value_kind:     by_value
      - .address_space:  global
        .offset:         8
        .size:           8
        .value_kind:     global_buffer
      - .offset:         16
        .size:           8
        .value_kind:     by_value
      - .offset:         24
        .size:           4
        .value_kind:     by_value
      - .offset:         32
        .size:           8
        .value_kind:     by_value
      - .address_space:  global
        .offset:         40
        .size:           8
        .value_kind:     global_buffer
      - .offset:         48
        .size:           4
        .value_kind:     hidden_block_count_x
      - .offset:         52
        .size:           4
        .value_kind:     hidden_block_count_y
      - .offset:         56
        .size:           4
        .value_kind:     hidden_block_count_z
      - .offset:         60
        .size:           2
        .value_kind:     hidden_group_size_x
      - .offset:         62
        .size:           2
        .value_kind:     hidden_group_size_y
      - .offset:         64
        .size:           2
        .value_kind:     hidden_group_size_z
      - .offset:         66
        .size:           2
        .value_kind:     hidden_remainder_x
      - .offset:         68
        .size:           2
        .value_kind:     hidden_remainder_y
      - .offset:         70
        .size:           2
        .value_kind:     hidden_remainder_z
      - .offset:         88
        .size:           8
        .value_kind:     hidden_global_offset_x
      - .offset:         96
        .size:           8
        .value_kind:     hidden_global_offset_y
      - .offset:         104
        .size:           8
        .value_kind:     hidden_global_offset_z
      - .offset:         112
        .size:           2
        .value_kind:     hidden_grid_dims
      - .offset:         128
        .size:           8
        .value_kind:     hidden_hostcall_buffer
      - .offset:         168
        .size:           4
        .value_kind:     hidden_dynamic_lds_size
    .group_segment_fixed_size: 0
    .kernarg_segment_align: 8
    .kernarg_segment_size: 304
    .language:       OpenCL C
    .language_version:
      - 2
      - 0
    .max_flat_workgroup_size: 1024
    .name:           _ZN9rocsolver6v33100L18potf2_kernel_smallIfiiPKPfEEvbT0_T2_lS5_lPT1_
    .private_segment_fixed_size: 64
    .sgpr_count:     90
    .sgpr_spill_count: 0
    .symbol:         _ZN9rocsolver6v33100L18potf2_kernel_smallIfiiPKPfEEvbT0_T2_lS5_lPT1_.kd
    .uniform_work_group_size: 1
    .uses_dynamic_stack: false
    .vgpr_count:     51
    .vgpr_spill_count: 0
    .wavefront_size: 64
  - .args:
      - .offset:         0
        .size:           1
        .value_kind:     by_value
      - .offset:         8
        .size:           8
        .value_kind:     by_value
      - .address_space:  global
        .offset:         16
        .size:           8
        .value_kind:     global_buffer
      - .offset:         24
        .size:           8
        .value_kind:     by_value
      - .offset:         32
        .size:           8
        .value_kind:     by_value
      - .offset:         40
        .size:           8
        .value_kind:     by_value
      - .address_space:  global
        .offset:         48
        .size:           8
        .value_kind:     global_buffer
      - .offset:         56
        .size:           4
        .value_kind:     hidden_block_count_x
      - .offset:         60
        .size:           4
        .value_kind:     hidden_block_count_y
      - .offset:         64
        .size:           4
        .value_kind:     hidden_block_count_z
      - .offset:         68
        .size:           2
        .value_kind:     hidden_group_size_x
      - .offset:         70
        .size:           2
        .value_kind:     hidden_group_size_y
      - .offset:         72
        .size:           2
        .value_kind:     hidden_group_size_z
      - .offset:         74
        .size:           2
        .value_kind:     hidden_remainder_x
      - .offset:         76
        .size:           2
        .value_kind:     hidden_remainder_y
      - .offset:         78
        .size:           2
        .value_kind:     hidden_remainder_z
      - .offset:         96
        .size:           8
        .value_kind:     hidden_global_offset_x
      - .offset:         104
        .size:           8
        .value_kind:     hidden_global_offset_y
      - .offset:         112
        .size:           8
        .value_kind:     hidden_global_offset_z
      - .offset:         120
        .size:           2
        .value_kind:     hidden_grid_dims
      - .offset:         136
        .size:           8
        .value_kind:     hidden_hostcall_buffer
      - .offset:         176
        .size:           4
        .value_kind:     hidden_dynamic_lds_size
    .group_segment_fixed_size: 0
    .kernarg_segment_align: 8
    .kernarg_segment_size: 312
    .language:       OpenCL C
    .language_version:
      - 2
      - 0
    .max_flat_workgroup_size: 1024
    .name:           _ZN9rocsolver6v33100L18potf2_kernel_smallIfllPfEEvbT0_T2_lS3_lPT1_
    .private_segment_fixed_size: 64
    .sgpr_count:     64
    .sgpr_spill_count: 0
    .symbol:         _ZN9rocsolver6v33100L18potf2_kernel_smallIfllPfEEvbT0_T2_lS3_lPT1_.kd
    .uniform_work_group_size: 1
    .uses_dynamic_stack: false
    .vgpr_count:     51
    .vgpr_spill_count: 0
    .wavefront_size: 64
  - .args:
      - .offset:         0
        .size:           1
        .value_kind:     by_value
      - .offset:         8
        .size:           8
        .value_kind:     by_value
      - .address_space:  global
        .offset:         16
        .size:           8
        .value_kind:     global_buffer
      - .offset:         24
        .size:           8
        .value_kind:     by_value
      - .offset:         32
        .size:           8
        .value_kind:     by_value
      - .offset:         40
        .size:           8
        .value_kind:     by_value
      - .address_space:  global
        .offset:         48
        .size:           8
        .value_kind:     global_buffer
      - .offset:         56
        .size:           4
        .value_kind:     hidden_block_count_x
      - .offset:         60
        .size:           4
        .value_kind:     hidden_block_count_y
      - .offset:         64
        .size:           4
        .value_kind:     hidden_block_count_z
      - .offset:         68
        .size:           2
        .value_kind:     hidden_group_size_x
      - .offset:         70
        .size:           2
        .value_kind:     hidden_group_size_y
      - .offset:         72
        .size:           2
        .value_kind:     hidden_group_size_z
      - .offset:         74
        .size:           2
        .value_kind:     hidden_remainder_x
      - .offset:         76
        .size:           2
        .value_kind:     hidden_remainder_y
      - .offset:         78
        .size:           2
        .value_kind:     hidden_remainder_z
      - .offset:         96
        .size:           8
        .value_kind:     hidden_global_offset_x
      - .offset:         104
        .size:           8
        .value_kind:     hidden_global_offset_y
      - .offset:         112
        .size:           8
        .value_kind:     hidden_global_offset_z
      - .offset:         120
        .size:           2
        .value_kind:     hidden_grid_dims
      - .offset:         136
        .size:           8
        .value_kind:     hidden_hostcall_buffer
      - .offset:         176
        .size:           4
        .value_kind:     hidden_dynamic_lds_size
    .group_segment_fixed_size: 0
    .kernarg_segment_align: 8
    .kernarg_segment_size: 312
    .language:       OpenCL C
    .language_version:
      - 2
      - 0
    .max_flat_workgroup_size: 1024
    .name:           _ZN9rocsolver6v33100L18potf2_kernel_smallIfllPKPfEEvbT0_T2_lS5_lPT1_
    .private_segment_fixed_size: 64
    .sgpr_count:     60
    .sgpr_spill_count: 0
    .symbol:         _ZN9rocsolver6v33100L18potf2_kernel_smallIfllPKPfEEvbT0_T2_lS5_lPT1_.kd
    .uniform_work_group_size: 1
    .uses_dynamic_stack: false
    .vgpr_count:     51
    .vgpr_spill_count: 0
    .wavefront_size: 64
  - .args:
      - .offset:         0
        .size:           1
        .value_kind:     by_value
      - .offset:         8
        .size:           8
        .value_kind:     by_value
      - .address_space:  global
        .offset:         16
        .size:           8
        .value_kind:     global_buffer
      - .offset:         24
        .size:           8
        .value_kind:     by_value
      - .offset:         32
        .size:           8
        .value_kind:     by_value
      - .offset:         40
        .size:           8
        .value_kind:     by_value
      - .address_space:  global
        .offset:         48
        .size:           8
        .value_kind:     global_buffer
      - .offset:         56
        .size:           4
        .value_kind:     hidden_block_count_x
      - .offset:         60
        .size:           4
        .value_kind:     hidden_block_count_y
      - .offset:         64
        .size:           4
        .value_kind:     hidden_block_count_z
      - .offset:         68
        .size:           2
        .value_kind:     hidden_group_size_x
      - .offset:         70
        .size:           2
        .value_kind:     hidden_group_size_y
      - .offset:         72
        .size:           2
        .value_kind:     hidden_group_size_z
      - .offset:         74
        .size:           2
        .value_kind:     hidden_remainder_x
      - .offset:         76
        .size:           2
        .value_kind:     hidden_remainder_y
      - .offset:         78
        .size:           2
        .value_kind:     hidden_remainder_z
      - .offset:         96
        .size:           8
        .value_kind:     hidden_global_offset_x
      - .offset:         104
        .size:           8
        .value_kind:     hidden_global_offset_y
      - .offset:         112
        .size:           8
        .value_kind:     hidden_global_offset_z
      - .offset:         120
        .size:           2
        .value_kind:     hidden_grid_dims
      - .offset:         136
        .size:           8
        .value_kind:     hidden_hostcall_buffer
      - .offset:         176
        .size:           4
        .value_kind:     hidden_dynamic_lds_size
    .group_segment_fixed_size: 0
    .kernarg_segment_align: 8
    .kernarg_segment_size: 312
    .language:       OpenCL C
    .language_version:
      - 2
      - 0
    .max_flat_workgroup_size: 1024
    .name:           _ZN9rocsolver6v33100L18potf2_kernel_smallIfliPfEEvbT0_T2_lS3_lPT1_
    .private_segment_fixed_size: 64
    .sgpr_count:     64
    .sgpr_spill_count: 0
    .symbol:         _ZN9rocsolver6v33100L18potf2_kernel_smallIfliPfEEvbT0_T2_lS3_lPT1_.kd
    .uniform_work_group_size: 1
    .uses_dynamic_stack: false
    .vgpr_count:     51
    .vgpr_spill_count: 0
    .wavefront_size: 64
amdhsa.target:   amdgcn-amd-amdhsa--gfx906
amdhsa.version:
  - 1
  - 2
...

	.end_amdgpu_metadata
